;; amdgpu-corpus repo=ROCm/rocFFT kind=compiled arch=gfx1201 opt=O3
	.text
	.amdgcn_target "amdgcn-amd-amdhsa--gfx1201"
	.amdhsa_code_object_version 6
	.protected	bluestein_single_fwd_len2401_dim1_sp_op_CI_CI ; -- Begin function bluestein_single_fwd_len2401_dim1_sp_op_CI_CI
	.globl	bluestein_single_fwd_len2401_dim1_sp_op_CI_CI
	.p2align	8
	.type	bluestein_single_fwd_len2401_dim1_sp_op_CI_CI,@function
bluestein_single_fwd_len2401_dim1_sp_op_CI_CI: ; @bluestein_single_fwd_len2401_dim1_sp_op_CI_CI
; %bb.0:
	s_load_b128 s[12:15], s[0:1], 0x28
	v_mul_u32_u24_e32 v1, 0x53a, v0
	s_mov_b32 s2, exec_lo
	v_mov_b32_e32 v2, 0
	s_delay_alu instid0(VALU_DEP_2) | instskip(NEXT) | instid1(VALU_DEP_1)
	v_lshrrev_b32_e32 v3, 16, v1
	v_add_nc_u32_e32 v1, ttmp9, v3
	s_wait_kmcnt 0x0
	s_delay_alu instid0(VALU_DEP_1)
	v_cmpx_gt_u64_e64 s[12:13], v[1:2]
	s_cbranch_execz .LBB0_2
; %bb.1:
	s_clause 0x2
	s_load_b128 s[4:7], s[0:1], 0x0
	s_load_b128 s[20:23], s[0:1], 0x18
	s_load_b64 s[12:13], s[0:1], 0x38
	v_mul_lo_u16 v2, v3, 49
	s_wait_kmcnt 0x0
	s_load_b128 s[8:11], s[20:21], 0x0
	s_load_b128 s[0:3], s[22:23], 0x0
	s_delay_alu instid0(VALU_DEP_1) | instskip(SKIP_3) | instid1(VALU_DEP_1)
	v_sub_nc_u16 v100, v0, v2
	s_add_nc_u64 s[16:17], s[4:5], 0x4b08
	s_wait_kmcnt 0x0
	v_mad_co_u64_u32 v[4:5], null, s2, v1, 0
	v_mov_b32_e32 v0, v5
	s_delay_alu instid0(VALU_DEP_1) | instskip(SKIP_3) | instid1(VALU_DEP_2)
	v_mad_co_u64_u32 v[2:3], null, s3, v1, v[0:1]
	v_and_b32_e32 v6, 0xffff, v100
	s_movk_i32 s2, 0xc138
	s_mov_b32 s3, -1
	v_mov_b32_e32 v5, v2
	v_mad_co_u64_u32 v[2:3], null, s10, v1, 0
	v_mov_b32_e32 v10, v6
	v_lshlrev_b32_e32 v98, 3, v6
	scratch_store_b64 off, v[4:5], off offset:336 ; 8-byte Folded Spill
	v_dual_mov_b32 v21, v10 :: v_dual_mov_b32 v0, v3
	v_add_nc_u32_e32 v117, 0x800, v98
	v_add_co_u32 v118, null, v10, 49
	s_delay_alu instid0(VALU_DEP_3) | instskip(NEXT) | instid1(VALU_DEP_4)
	v_mov_b32_e32 v116, v21
	v_mad_co_u64_u32 v[0:1], null, s11, v1, v[0:1]
	s_mul_u64 s[10:11], s[8:9], 0xab8
	v_add_nc_u32_e32 v198, 0x2000, v98
	v_add_nc_u32_e32 v120, 0x1800, v98
	v_add_co_u32 v106, null, 0x62, v21
	v_add_co_u32 v107, null, 0x93, v21
	v_mov_b32_e32 v3, v0
	v_mad_co_u64_u32 v[0:1], null, s8, v6, 0
	v_add_co_u32 v112, null, 0xc4, v21
	v_add_co_u32 v200, null, 0xf5, v21
	;; [unrolled: 1-line block ×3, first 2 shown]
	s_delay_alu instid0(VALU_DEP_4)
	v_mad_co_u64_u32 v[4:5], null, s9, v6, v[1:2]
	v_lshlrev_b64_e32 v[2:3], 3, v[2:3]
	global_load_b64 v[5:6], v98, s[4:5]
	s_wait_alu 0xfffe
	s_mul_u64 s[8:9], s[8:9], s[2:3]
	v_and_b32_e32 v216, 0xffff, v217
	v_add_nc_u32_e32 v199, 0x2800, v98
	v_add_nc_u32_e32 v121, 0x4000, v98
	v_mov_b32_e32 v1, v4
	v_add_co_u32 v2, vcc_lo, s14, v2
	v_add_co_ci_u32_e32 v3, vcc_lo, s15, v3, vcc_lo
	s_delay_alu instid0(VALU_DEP_3) | instskip(SKIP_2) | instid1(VALU_DEP_3)
	v_lshlrev_b64_e32 v[0:1], 3, v[0:1]
	v_add_nc_u32_e32 v203, 0x3800, v98
	v_and_b32_e32 v201, 0xffff, v200
	v_add_co_u32 v0, vcc_lo, v2, v0
	s_wait_alu 0xfffd
	s_delay_alu instid0(VALU_DEP_4)
	v_add_co_ci_u32_e32 v1, vcc_lo, v3, v1, vcc_lo
	global_load_b64 v[2:3], v[0:1], off
	v_add_co_u32 v0, vcc_lo, v0, s10
	s_wait_alu 0xfffd
	v_add_co_ci_u32_e32 v1, vcc_lo, s11, v1, vcc_lo
	s_wait_loadcnt 0x1
	scratch_store_b64 off, v[5:6], off offset:384 ; 8-byte Folded Spill
	s_wait_loadcnt 0x0
	v_mul_f32_e32 v4, v3, v6
	s_delay_alu instid0(VALU_DEP_1) | instskip(SKIP_1) | instid1(VALU_DEP_1)
	v_fmac_f32_e32 v4, v2, v5
	v_mul_f32_e32 v2, v2, v6
	v_fma_f32 v5, v3, v5, -v2
	global_load_b64 v[2:3], v[0:1], off
	global_load_b64 v[7:8], v98, s[4:5] offset:2744
	v_add_co_u32 v0, vcc_lo, v0, s10
	s_wait_alu 0xfffd
	v_add_co_ci_u32_e32 v1, vcc_lo, s11, v1, vcc_lo
	s_wait_loadcnt 0x0
	v_mul_f32_e32 v6, v3, v8
	scratch_store_b64 off, v[7:8], off offset:344 ; 8-byte Folded Spill
	v_fmac_f32_e32 v6, v2, v7
	v_mul_f32_e32 v2, v2, v8
	s_delay_alu instid0(VALU_DEP_1)
	v_fma_f32 v7, v3, v7, -v2
	ds_store_b64 v98, v[6:7] offset:2744
	global_load_b64 v[2:3], v[0:1], off
	global_load_b64 v[7:8], v98, s[4:5] offset:5488
	v_add_co_u32 v0, vcc_lo, v0, s10
	s_wait_alu 0xfffd
	v_add_co_ci_u32_e32 v1, vcc_lo, s11, v1, vcc_lo
	s_wait_loadcnt 0x0
	v_mul_f32_e32 v6, v3, v8
	scratch_store_b64 off, v[7:8], off offset:352 ; 8-byte Folded Spill
	v_fmac_f32_e32 v6, v2, v7
	v_mul_f32_e32 v2, v2, v8
	s_delay_alu instid0(VALU_DEP_1)
	v_fma_f32 v7, v3, v7, -v2
	ds_store_b64 v98, v[6:7] offset:5488
	;; [unrolled: 13-line block ×5, first 2 shown]
	global_load_b64 v[2:3], v[0:1], off
	global_load_b64 v[7:8], v98, s[4:5] offset:16464
	s_wait_alu 0xfffe
	v_add_co_u32 v0, vcc_lo, v0, s8
	s_wait_alu 0xfffd
	v_add_co_ci_u32_e32 v1, vcc_lo, s9, v1, vcc_lo
	s_wait_loadcnt 0x0
	v_mul_f32_e32 v6, v3, v8
	scratch_store_b64 off, v[7:8], off offset:360 ; 8-byte Folded Spill
	v_fmac_f32_e32 v6, v2, v7
	v_mul_f32_e32 v2, v2, v8
	s_delay_alu instid0(VALU_DEP_1)
	v_fma_f32 v7, v3, v7, -v2
	ds_store_b64 v98, v[6:7] offset:16464
	global_load_b64 v[2:3], v[0:1], off
	global_load_b64 v[7:8], v98, s[4:5] offset:392
	v_add_co_u32 v0, vcc_lo, v0, s10
	s_wait_alu 0xfffd
	v_add_co_ci_u32_e32 v1, vcc_lo, s11, v1, vcc_lo
	s_wait_loadcnt 0x0
	v_mul_f32_e32 v6, v3, v8
	scratch_store_b64 off, v[7:8], off offset:328 ; 8-byte Folded Spill
	v_fmac_f32_e32 v6, v2, v7
	v_mul_f32_e32 v2, v2, v8
	s_delay_alu instid0(VALU_DEP_1)
	v_fma_f32 v7, v3, v7, -v2
	ds_store_2addr_b64 v98, v[4:5], v[6:7] offset1:49
	global_load_b64 v[2:3], v[0:1], off
	global_load_b64 v[5:6], v98, s[4:5] offset:3136
	v_add_co_u32 v0, vcc_lo, v0, s10
	s_wait_alu 0xfffd
	v_add_co_ci_u32_e32 v1, vcc_lo, s11, v1, vcc_lo
	s_wait_loadcnt 0x0
	v_mul_f32_e32 v4, v3, v6
	scratch_store_b64 off, v[5:6], off offset:320 ; 8-byte Folded Spill
	v_fmac_f32_e32 v4, v2, v5
	v_mul_f32_e32 v2, v2, v6
	s_delay_alu instid0(VALU_DEP_1)
	v_fma_f32 v5, v3, v5, -v2
	global_load_b64 v[2:3], v[0:1], off
	global_load_b64 v[7:8], v98, s[4:5] offset:5880
	v_add_co_u32 v0, vcc_lo, v0, s10
	s_wait_alu 0xfffd
	v_add_co_ci_u32_e32 v1, vcc_lo, s11, v1, vcc_lo
	s_wait_loadcnt 0x0
	v_mul_f32_e32 v6, v3, v8
	scratch_store_b64 off, v[7:8], off offset:304 ; 8-byte Folded Spill
	v_fmac_f32_e32 v6, v2, v7
	v_mul_f32_e32 v2, v2, v8
	s_delay_alu instid0(VALU_DEP_1)
	v_fma_f32 v7, v3, v7, -v2
	;; [unrolled: 12-line block ×8, first 2 shown]
	ds_store_2addr_b64 v117, v[4:5], v[18:19] offset0:136 offset1:185
	global_load_b64 v[2:3], v[0:1], off
	global_load_b64 v[18:19], v98, s[4:5] offset:6272
	v_add_co_u32 v0, vcc_lo, v0, s10
	s_wait_alu 0xfffd
	v_add_co_ci_u32_e32 v1, vcc_lo, s11, v1, vcc_lo
	s_wait_loadcnt 0x0
	v_mul_f32_e32 v4, v3, v19
	scratch_store_b64 off, v[18:19], off offset:264 ; 8-byte Folded Spill
	v_fmac_f32_e32 v4, v2, v18
	v_mul_f32_e32 v2, v2, v19
	s_delay_alu instid0(VALU_DEP_1)
	v_fma_f32 v5, v3, v18, -v2
	v_add_nc_u32_e32 v2, 0x1400, v98
	ds_store_2addr_b64 v2, v[6:7], v[4:5] offset0:95 offset1:144
	global_load_b64 v[2:3], v[0:1], off
	global_load_b64 v[5:6], v98, s[4:5] offset:9016
	v_add_co_u32 v0, vcc_lo, v0, s10
	s_wait_alu 0xfffd
	v_add_co_ci_u32_e32 v1, vcc_lo, s11, v1, vcc_lo
	s_wait_loadcnt 0x0
	v_mul_f32_e32 v4, v3, v6
	scratch_store_b64 off, v[5:6], off offset:272 ; 8-byte Folded Spill
	v_fmac_f32_e32 v4, v2, v5
	v_mul_f32_e32 v2, v2, v6
	s_delay_alu instid0(VALU_DEP_1)
	v_fma_f32 v5, v3, v5, -v2
	ds_store_2addr_b64 v198, v[8:9], v[4:5] offset0:54 offset1:103
	global_load_b64 v[2:3], v[0:1], off
	global_load_b64 v[5:6], v98, s[4:5] offset:11760
	v_add_co_u32 v0, vcc_lo, v0, s10
	s_wait_alu 0xfffd
	v_add_co_ci_u32_e32 v1, vcc_lo, s11, v1, vcc_lo
	s_wait_loadcnt 0x0
	v_mul_f32_e32 v4, v3, v6
	scratch_store_b64 off, v[5:6], off offset:280 ; 8-byte Folded Spill
	v_fmac_f32_e32 v4, v2, v5
	v_mul_f32_e32 v2, v2, v6
	s_delay_alu instid0(VALU_DEP_1)
	v_fma_f32 v5, v3, v5, -v2
	ds_store_2addr_b64 v199, v[10:11], v[4:5] offset0:141 offset1:190
	global_load_b64 v[2:3], v[0:1], off
	global_load_b64 v[5:6], v98, s[4:5] offset:14504
	v_add_co_u32 v0, vcc_lo, v0, s10
	s_wait_alu 0xfffd
	v_add_co_ci_u32_e32 v1, vcc_lo, s11, v1, vcc_lo
	s_wait_loadcnt 0x0
	v_mul_f32_e32 v4, v3, v6
	scratch_store_b64 off, v[5:6], off offset:216 ; 8-byte Folded Spill
	v_fmac_f32_e32 v4, v2, v5
	v_mul_f32_e32 v2, v2, v6
	s_delay_alu instid0(VALU_DEP_1)
	v_fma_f32 v5, v3, v5, -v2
	v_add_nc_u32_e32 v2, 0x3400, v98
	ds_store_2addr_b64 v2, v[12:13], v[4:5] offset0:100 offset1:149
	v_mov_b32_e32 v22, v2
	global_load_b64 v[2:3], v[0:1], off
	global_load_b64 v[5:6], v98, s[4:5] offset:17248
	v_add_co_u32 v0, vcc_lo, v0, s8
	s_wait_alu 0xfffd
	v_add_co_ci_u32_e32 v1, vcc_lo, s9, v1, vcc_lo
	s_wait_loadcnt 0x0
	v_mul_f32_e32 v4, v3, v6
	scratch_store_b64 off, v[5:6], off offset:208 ; 8-byte Folded Spill
	v_fmac_f32_e32 v4, v2, v5
	v_mul_f32_e32 v2, v2, v6
	s_delay_alu instid0(VALU_DEP_1)
	v_fma_f32 v5, v3, v5, -v2
	ds_store_2addr_b64 v121, v[14:15], v[4:5] offset0:59 offset1:108
	global_load_b64 v[2:3], v[0:1], off
	global_load_b64 v[5:6], v98, s[4:5] offset:1176
	v_add_co_u32 v0, vcc_lo, v0, s10
	s_wait_alu 0xfffd
	v_add_co_ci_u32_e32 v1, vcc_lo, s11, v1, vcc_lo
	s_wait_loadcnt 0x0
	v_mul_f32_e32 v4, v3, v6
	scratch_store_b64 off, v[5:6], off offset:256 ; 8-byte Folded Spill
	v_fmac_f32_e32 v4, v2, v5
	v_mul_f32_e32 v2, v2, v6
	s_delay_alu instid0(VALU_DEP_1)
	v_fma_f32 v5, v3, v5, -v2
	ds_store_2addr_b64 v98, v[16:17], v[4:5] offset0:98 offset1:147
	global_load_b64 v[2:3], v[0:1], off
	global_load_b64 v[5:6], v98, s[4:5] offset:3920
	v_add_co_u32 v0, vcc_lo, v0, s10
	s_wait_alu 0xfffd
	v_add_co_ci_u32_e32 v1, vcc_lo, s11, v1, vcc_lo
	s_wait_loadcnt 0x0
	v_mul_f32_e32 v4, v3, v6
	scratch_store_b64 off, v[5:6], off offset:248 ; 8-byte Folded Spill
	v_fmac_f32_e32 v4, v2, v5
	v_mul_f32_e32 v2, v2, v6
	s_delay_alu instid0(VALU_DEP_1)
	v_fma_f32 v5, v3, v5, -v2
	global_load_b64 v[2:3], v[0:1], off
	global_load_b64 v[7:8], v98, s[4:5] offset:6664
	v_add_co_u32 v0, vcc_lo, v0, s10
	s_wait_alu 0xfffd
	v_add_co_ci_u32_e32 v1, vcc_lo, s11, v1, vcc_lo
	s_wait_loadcnt 0x0
	v_mul_f32_e32 v6, v3, v8
	scratch_store_b64 off, v[7:8], off offset:192 ; 8-byte Folded Spill
	v_fmac_f32_e32 v6, v2, v7
	v_mul_f32_e32 v2, v2, v8
	s_delay_alu instid0(VALU_DEP_1)
	v_fma_f32 v7, v3, v7, -v2
	;; [unrolled: 12-line block ×8, first 2 shown]
	v_add_nc_u32_e32 v2, 0xc00, v98
	ds_store_2addr_b64 v2, v[4:5], v[18:19] offset0:106 offset1:155
	v_mov_b32_e32 v20, v2
	global_load_b64 v[2:3], v[0:1], off
	global_load_b64 v[18:19], v98, s[4:5] offset:7056
	v_add_co_u32 v0, vcc_lo, v0, s10
	s_wait_alu 0xfffd
	v_add_co_ci_u32_e32 v1, vcc_lo, s11, v1, vcc_lo
	s_wait_loadcnt 0x0
	v_mul_f32_e32 v4, v3, v19
	scratch_store_b64 off, v[18:19], off offset:152 ; 8-byte Folded Spill
	v_fmac_f32_e32 v4, v2, v18
	v_mul_f32_e32 v2, v2, v19
	s_delay_alu instid0(VALU_DEP_1)
	v_fma_f32 v5, v3, v18, -v2
	ds_store_2addr_b64 v120, v[6:7], v[4:5] offset0:65 offset1:114
	global_load_b64 v[2:3], v[0:1], off
	global_load_b64 v[5:6], v98, s[4:5] offset:9800
	v_add_co_u32 v0, vcc_lo, v0, s10
	s_wait_alu 0xfffd
	v_add_co_ci_u32_e32 v1, vcc_lo, s11, v1, vcc_lo
	s_wait_loadcnt 0x0
	v_mul_f32_e32 v4, v3, v6
	scratch_store_b64 off, v[5:6], off offset:128 ; 8-byte Folded Spill
	v_fmac_f32_e32 v4, v2, v5
	v_mul_f32_e32 v2, v2, v6
	s_delay_alu instid0(VALU_DEP_1)
	v_fma_f32 v5, v3, v5, -v2
	ds_store_2addr_b64 v198, v[8:9], v[4:5] offset0:152 offset1:201
	global_load_b64 v[2:3], v[0:1], off
	global_load_b64 v[5:6], v98, s[4:5] offset:12544
	v_add_co_u32 v0, vcc_lo, v0, s10
	s_wait_alu 0xfffd
	v_add_co_ci_u32_e32 v1, vcc_lo, s11, v1, vcc_lo
	s_wait_loadcnt 0x0
	v_mul_f32_e32 v4, v3, v6
	scratch_store_b64 off, v[5:6], off offset:136 ; 8-byte Folded Spill
	v_fmac_f32_e32 v4, v2, v5
	v_mul_f32_e32 v2, v2, v6
	s_delay_alu instid0(VALU_DEP_1)
	v_fma_f32 v5, v3, v5, -v2
	v_add_nc_u32_e32 v2, 0x2c00, v98
	ds_store_2addr_b64 v2, v[10:11], v[4:5] offset0:111 offset1:160
	global_load_b64 v[2:3], v[0:1], off
	global_load_b64 v[5:6], v98, s[4:5] offset:15288
	v_add_co_u32 v0, vcc_lo, v0, s10
	s_wait_alu 0xfffd
	v_add_co_ci_u32_e32 v1, vcc_lo, s11, v1, vcc_lo
	s_wait_loadcnt 0x0
	v_mul_f32_e32 v4, v3, v6
	scratch_store_b64 off, v[5:6], off offset:120 ; 8-byte Folded Spill
	v_fmac_f32_e32 v4, v2, v5
	v_mul_f32_e32 v2, v2, v6
	s_delay_alu instid0(VALU_DEP_1)
	v_fma_f32 v5, v3, v5, -v2
	ds_store_2addr_b64 v203, v[12:13], v[4:5] offset0:70 offset1:119
	global_load_b64 v[2:3], v[0:1], off
	global_load_b64 v[5:6], v98, s[4:5] offset:18032
	v_add_co_u32 v0, vcc_lo, v0, s8
	s_wait_alu 0xfffd
	v_add_co_ci_u32_e32 v1, vcc_lo, s9, v1, vcc_lo
	s_wait_loadcnt 0x0
	v_mul_f32_e32 v4, v3, v6
	scratch_store_b64 off, v[5:6], off offset:104 ; 8-byte Folded Spill
	v_fmac_f32_e32 v4, v2, v5
	v_mul_f32_e32 v2, v2, v6
	s_delay_alu instid0(VALU_DEP_1)
	v_fma_f32 v5, v3, v5, -v2
	;; [unrolled: 13-line block ×4, first 2 shown]
	global_load_b64 v[2:3], v[0:1], off
	global_load_b64 v[7:8], v98, s[4:5] offset:7448
	v_add_co_u32 v0, vcc_lo, v0, s10
	s_wait_alu 0xfffd
	v_add_co_ci_u32_e32 v1, vcc_lo, s11, v1, vcc_lo
	s_wait_loadcnt 0x0
	v_mul_f32_e32 v6, v3, v8
	scratch_store_b64 off, v[7:8], off offset:80 ; 8-byte Folded Spill
	v_fmac_f32_e32 v6, v2, v7
	v_mul_f32_e32 v2, v2, v8
	s_delay_alu instid0(VALU_DEP_1)
	v_fma_f32 v7, v3, v7, -v2
	global_load_b64 v[2:3], v[0:1], off
	global_load_b64 v[9:10], v98, s[4:5] offset:10192
	v_add_co_u32 v0, vcc_lo, v0, s10
	s_wait_alu 0xfffd
	v_add_co_ci_u32_e32 v1, vcc_lo, s11, v1, vcc_lo
	s_wait_loadcnt 0x0
	v_mul_f32_e32 v8, v3, v10
	scratch_store_b64 off, v[9:10], off offset:88 ; 8-byte Folded Spill
	v_fmac_f32_e32 v8, v2, v9
	v_mul_f32_e32 v2, v2, v10
	s_delay_alu instid0(VALU_DEP_1)
	v_fma_f32 v9, v3, v9, -v2
	;; [unrolled: 12-line block ×4, first 2 shown]
	global_load_b64 v[2:3], v[0:1], off
	global_load_b64 v[15:16], v98, s[4:5] offset:18424
	v_add_co_u32 v0, vcc_lo, v0, s8
	s_wait_alu 0xfffd
	v_add_co_ci_u32_e32 v1, vcc_lo, s9, v1, vcc_lo
	scratch_store_b32 off, v116, off offset:400 ; 4-byte Folded Spill
	s_wait_loadcnt 0x0
	v_mul_f32_e32 v14, v3, v16
	scratch_store_b64 off, v[15:16], off offset:56 ; 8-byte Folded Spill
	v_fmac_f32_e32 v14, v2, v15
	v_mul_f32_e32 v2, v2, v16
	s_delay_alu instid0(VALU_DEP_1)
	v_fma_f32 v15, v3, v15, -v2
	global_load_b64 v[2:3], v[0:1], off
	global_load_b64 v[17:18], v98, s[4:5] offset:2352
	v_add_co_u32 v0, vcc_lo, v0, s10
	s_wait_alu 0xfffd
	v_add_co_ci_u32_e32 v1, vcc_lo, s11, v1, vcc_lo
	s_wait_loadcnt 0x0
	v_mul_f32_e32 v16, v3, v18
	scratch_store_b64 off, v[17:18], off    ; 8-byte Folded Spill
	v_fmac_f32_e32 v16, v2, v17
	v_mul_f32_e32 v2, v2, v18
	s_delay_alu instid0(VALU_DEP_1)
	v_fma_f32 v17, v3, v17, -v2
	ds_store_b64 v98, v[16:17] offset:2352
	global_load_b64 v[2:3], v[0:1], off
	global_load_b64 v[17:18], v98, s[4:5] offset:5096
	v_add_co_u32 v0, vcc_lo, v0, s10
	s_wait_alu 0xfffd
	v_add_co_ci_u32_e32 v1, vcc_lo, s11, v1, vcc_lo
	s_wait_loadcnt 0x0
	v_mul_f32_e32 v16, v3, v18
	scratch_store_b64 off, v[17:18], off offset:8 ; 8-byte Folded Spill
	v_fmac_f32_e32 v16, v2, v17
	v_mul_f32_e32 v2, v2, v18
	s_delay_alu instid0(VALU_DEP_1)
	v_fma_f32 v17, v3, v17, -v2
	v_add_nc_u32_e32 v2, 0x1000, v98
	ds_store_2addr_b64 v2, v[4:5], v[16:17] offset0:76 offset1:125
	v_mov_b32_e32 v197, v2
	global_load_b64 v[2:3], v[0:1], off
	global_load_b64 v[16:17], v98, s[4:5] offset:7840
	v_add_co_u32 v0, vcc_lo, v0, s10
	s_wait_alu 0xfffd
	v_add_co_ci_u32_e32 v1, vcc_lo, s11, v1, vcc_lo
	s_wait_loadcnt 0x0
	v_mul_f32_e32 v4, v3, v17
	scratch_store_b64 off, v[16:17], off offset:16 ; 8-byte Folded Spill
	v_fmac_f32_e32 v4, v2, v16
	v_mul_f32_e32 v2, v2, v17
	s_delay_alu instid0(VALU_DEP_1)
	v_fma_f32 v5, v3, v16, -v2
	ds_store_2addr_b64 v120, v[6:7], v[4:5] offset0:163 offset1:212
	global_load_b64 v[2:3], v[0:1], off
	global_load_b64 v[5:6], v98, s[4:5] offset:10584
	v_add_co_u32 v0, vcc_lo, v0, s10
	s_wait_alu 0xfffd
	v_add_co_ci_u32_e32 v1, vcc_lo, s11, v1, vcc_lo
	s_wait_loadcnt 0x0
	v_mul_f32_e32 v4, v3, v6
	scratch_store_b64 off, v[5:6], off offset:24 ; 8-byte Folded Spill
	v_fmac_f32_e32 v4, v2, v5
	v_mul_f32_e32 v2, v2, v6
	s_delay_alu instid0(VALU_DEP_1)
	v_fma_f32 v5, v3, v5, -v2
	v_add_nc_u32_e32 v2, 0x2400, v98
	ds_store_2addr_b64 v2, v[8:9], v[4:5] offset0:122 offset1:171
	v_mov_b32_e32 v16, v2
	global_load_b64 v[2:3], v[0:1], off
	global_load_b64 v[5:6], v98, s[4:5] offset:13328
	v_add_co_u32 v0, vcc_lo, v0, s10
	s_wait_alu 0xfffd
	v_add_co_ci_u32_e32 v1, vcc_lo, s11, v1, vcc_lo
	v_add_nc_u32_e32 v8, 0x1c00, v98
	s_wait_loadcnt 0x0
	s_delay_alu instid0(VALU_DEP_1) | instskip(SKIP_3) | instid1(VALU_DEP_1)
	v_dual_mov_b32 v113, v8 :: v_dual_mul_f32 v4, v3, v6
	scratch_store_b64 off, v[5:6], off offset:32 ; 8-byte Folded Spill
	v_fmac_f32_e32 v4, v2, v5
	v_mul_f32_e32 v2, v2, v6
	v_fma_f32 v5, v3, v5, -v2
	v_add_nc_u32_e32 v2, 0x3000, v98
	ds_store_2addr_b64 v2, v[10:11], v[4:5] offset0:81 offset1:130
	v_mov_b32_e32 v205, v2
	global_load_b64 v[2:3], v[0:1], off
	global_load_b64 v[5:6], v98, s[4:5] offset:16072
	v_add_co_u32 v0, vcc_lo, v0, s10
	s_wait_alu 0xfffd
	v_add_co_ci_u32_e32 v1, vcc_lo, s11, v1, vcc_lo
	s_wait_loadcnt 0x0
	v_mul_f32_e32 v4, v3, v6
	scratch_store_b64 off, v[5:6], off offset:48 ; 8-byte Folded Spill
	v_fmac_f32_e32 v4, v2, v5
	v_mul_f32_e32 v2, v2, v6
	s_delay_alu instid0(VALU_DEP_1)
	v_fma_f32 v5, v3, v5, -v2
	ds_store_2addr_b64 v203, v[12:13], v[4:5] offset0:168 offset1:217
	global_load_b64 v[0:1], v[0:1], off
	global_load_b64 v[3:4], v98, s[4:5] offset:18816
	s_wait_loadcnt 0x0
	v_mul_f32_e32 v2, v1, v4
	scratch_store_b64 off, v[3:4], off offset:40 ; 8-byte Folded Spill
	v_fmac_f32_e32 v2, v0, v3
	v_mul_f32_e32 v0, v0, v4
	s_delay_alu instid0(VALU_DEP_1)
	v_fma_f32 v3, v1, v3, -v0
	v_add_nc_u32_e32 v0, 0x4400, v98
	ds_store_2addr_b64 v0, v[14:15], v[2:3] offset0:127 offset1:176
	global_wb scope:SCOPE_SE
	s_wait_storecnt_dscnt 0x0
	s_barrier_signal -1
	s_barrier_wait -1
	global_inv scope:SCOPE_SE
	ds_load_2addr_b64 v[68:71], v98 offset1:49
	ds_load_2addr_b64 v[0:3], v117 offset0:38 offset1:87
	ds_load_2addr_b64 v[80:83], v197 offset0:174 offset1:223
	;; [unrolled: 1-line block ×14, first 2 shown]
	s_wait_dscnt 0x8
	v_add_f32_e32 v99, v2, v88
	v_sub_f32_e32 v2, v2, v88
	v_dual_add_f32 v88, v80, v10 :: v_dual_add_f32 v101, v3, v89
	v_sub_f32_e32 v3, v3, v89
	v_dual_add_f32 v89, v81, v11 :: v_dual_sub_f32 v10, v80, v10
	v_add_f32_e32 v80, v6, v76
	v_sub_f32_e32 v6, v76, v6
	v_add_f32_e32 v76, v88, v99
	v_sub_f32_e32 v11, v81, v11
	;; [unrolled: 2-line block ×3, first 2 shown]
	v_dual_add_f32 v77, v89, v101 :: v_dual_add_f32 v104, v6, v10
	v_add_f32_e32 v76, v80, v76
	v_dual_sub_f32 v102, v88, v99 :: v_dual_sub_f32 v99, v99, v80
	s_delay_alu instid0(VALU_DEP_4)
	v_dual_sub_f32 v88, v80, v88 :: v_dual_add_f32 v105, v7, v11
	v_sub_f32_e32 v108, v6, v10
	v_sub_f32_e32 v6, v2, v6
	v_dual_sub_f32 v10, v10, v2 :: v_dual_add_f32 v77, v81, v77
	v_add_f32_e32 v80, v104, v2
	v_dual_add_f32 v2, v76, v68 :: v_dual_sub_f32 v103, v89, v101
	v_sub_f32_e32 v101, v101, v81
	v_sub_f32_e32 v89, v81, v89
	;; [unrolled: 1-line block ×5, first 2 shown]
	v_add_f32_e32 v81, v105, v3
	v_dual_add_f32 v3, v77, v69 :: v_dual_mov_b32 v110, v2
	v_dual_mul_f32 v68, 0x3f4a47b2, v99 :: v_dual_mul_f32 v69, 0x3f4a47b2, v101
	v_mul_f32_e32 v99, 0x3d64c772, v88
	v_mul_f32_e32 v101, 0x3d64c772, v89
	;; [unrolled: 1-line block ×4, first 2 shown]
	v_fmac_f32_e32 v110, 0xbf955555, v76
	v_dual_mov_b32 v76, v3 :: v_dual_mul_f32 v105, 0xbf08b237, v109
	v_mul_f32_e32 v109, 0xbf5ff5aa, v11
	s_delay_alu instid0(VALU_DEP_4) | instskip(NEXT) | instid1(VALU_DEP_3)
	v_fmac_f32_e32 v108, 0xbeae86e6, v6
	v_fmac_f32_e32 v76, 0xbf955555, v77
	v_dual_fmamk_f32 v77, v88, 0x3d64c772, v68 :: v_dual_fmamk_f32 v88, v89, 0x3d64c772, v69
	v_fma_f32 v89, 0x3f3bfb3b, v102, -v99
	v_fma_f32 v99, 0x3f3bfb3b, v103, -v101
	;; [unrolled: 1-line block ×3, first 2 shown]
	v_fmamk_f32 v101, v6, 0x3eae86e6, v104
	v_fma_f32 v103, 0x3f5ff5aa, v10, -v104
	v_fma_f32 v68, 0xbf3bfb3b, v102, -v68
	v_fmamk_f32 v102, v7, 0x3eae86e6, v105
	v_fma_f32 v104, 0x3f5ff5aa, v11, -v105
	v_fmac_f32_e32 v109, 0xbeae86e6, v7
	v_add_f32_e32 v111, v88, v76
	v_add_f32_e32 v7, v99, v76
	;; [unrolled: 1-line block ×3, first 2 shown]
	v_fmac_f32_e32 v101, 0x3ee1c552, v80
	v_fmac_f32_e32 v103, 0x3ee1c552, v80
	s_wait_dscnt 0x7
	v_dual_fmac_f32 v108, 0x3ee1c552, v80 :: v_dual_add_f32 v99, v92, v90
	v_sub_f32_e32 v90, v92, v90
	s_wait_dscnt 0x5
	v_dual_add_f32 v92, v82, v84 :: v_dual_add_f32 v105, v77, v110
	v_add_f32_e32 v6, v89, v110
	v_fmac_f32_e32 v102, 0x3ee1c552, v81
	v_fmac_f32_e32 v104, 0x3ee1c552, v81
	;; [unrolled: 1-line block ×3, first 2 shown]
	v_sub_f32_e32 v81, v111, v101
	v_sub_f32_e32 v89, v69, v108
	v_add_f32_e32 v11, v103, v7
	v_sub_f32_e32 v77, v7, v103
	v_add_f32_e32 v7, v108, v69
	v_add_f32_e32 v69, v101, v111
	;; [unrolled: 1-line block ×3, first 2 shown]
	v_sub_f32_e32 v91, v93, v91
	v_dual_add_f32 v93, v83, v85 :: v_dual_sub_f32 v82, v82, v84
	v_add_f32_e32 v84, v72, v78
	v_sub_f32_e32 v72, v78, v72
	v_dual_add_f32 v78, v92, v99 :: v_dual_sub_f32 v83, v83, v85
	v_add_f32_e32 v85, v73, v79
	v_sub_f32_e32 v73, v79, v73
	s_delay_alu instid0(VALU_DEP_3) | instskip(SKIP_2) | instid1(VALU_DEP_3)
	v_dual_add_f32 v79, v93, v101 :: v_dual_add_f32 v78, v84, v78
	v_add_f32_e32 v68, v68, v110
	v_add_f32_e32 v80, v105, v102
	v_dual_sub_f32 v10, v6, v104 :: v_dual_add_f32 v79, v85, v79
	s_delay_alu instid0(VALU_DEP_4) | instskip(NEXT) | instid1(VALU_DEP_4)
	v_add_f32_e32 v70, v78, v70
	v_add_f32_e32 v88, v109, v68
	v_add_f32_e32 v76, v104, v6
	v_sub_f32_e32 v6, v68, v109
	v_sub_f32_e32 v68, v105, v102
	v_dual_sub_f32 v102, v92, v99 :: v_dual_sub_f32 v103, v93, v101
	v_sub_f32_e32 v99, v99, v84
	v_dual_sub_f32 v101, v101, v85 :: v_dual_sub_f32 v92, v84, v92
	v_dual_sub_f32 v93, v85, v93 :: v_dual_add_f32 v104, v72, v82
	v_add_f32_e32 v105, v73, v83
	v_sub_f32_e32 v109, v73, v83
	v_sub_f32_e32 v83, v83, v91
	v_dual_add_f32 v71, v79, v71 :: v_dual_mov_b32 v110, v70
	v_sub_f32_e32 v108, v72, v82
	v_dual_sub_f32 v72, v90, v72 :: v_dual_sub_f32 v73, v91, v73
	v_sub_f32_e32 v82, v82, v90
	v_dual_add_f32 v84, v104, v90 :: v_dual_add_f32 v85, v105, v91
	v_dual_mul_f32 v90, 0x3f4a47b2, v99 :: v_dual_mul_f32 v91, 0x3f4a47b2, v101
	v_mul_f32_e32 v99, 0x3d64c772, v92
	v_mul_f32_e32 v101, 0x3d64c772, v93
	;; [unrolled: 1-line block ×4, first 2 shown]
	v_fmac_f32_e32 v110, 0xbf955555, v78
	v_mov_b32_e32 v78, v71
	v_mul_f32_e32 v104, 0xbf08b237, v108
	v_mul_f32_e32 v108, 0xbf5ff5aa, v82
	v_fma_f32 v83, 0x3f5ff5aa, v83, -v105
	v_fmac_f32_e32 v109, 0xbeae86e6, v73
	v_fmac_f32_e32 v78, 0xbf955555, v79
	v_dual_fmamk_f32 v79, v92, 0x3d64c772, v90 :: v_dual_fmamk_f32 v92, v93, 0x3d64c772, v91
	v_fma_f32 v93, 0x3f3bfb3b, v102, -v99
	v_fma_f32 v99, 0x3f3bfb3b, v103, -v101
	;; [unrolled: 1-line block ×4, first 2 shown]
	v_dual_fmamk_f32 v101, v72, 0x3eae86e6, v104 :: v_dual_fmamk_f32 v102, v73, 0x3eae86e6, v105
	v_fma_f32 v82, 0x3f5ff5aa, v82, -v104
	v_fmac_f32_e32 v108, 0xbeae86e6, v72
	v_add_f32_e32 v72, v93, v110
	v_add_f32_e32 v73, v99, v78
	;; [unrolled: 1-line block ×3, first 2 shown]
	v_fmac_f32_e32 v83, 0x3ee1c552, v85
	v_dual_fmac_f32 v109, 0x3ee1c552, v85 :: v_dual_add_f32 v104, v92, v78
	v_add_f32_e32 v105, v91, v78
	v_fmac_f32_e32 v101, 0x3ee1c552, v84
	v_fmac_f32_e32 v82, 0x3ee1c552, v84
	v_fmac_f32_e32 v108, 0x3ee1c552, v84
	v_add_f32_e32 v92, v109, v99
	v_sub_f32_e32 v78, v72, v83
	v_add_f32_e32 v84, v83, v72
	s_wait_dscnt 0x1
	v_dual_sub_f32 v72, v99, v109 :: v_dual_add_f32 v99, v94, v64
	v_sub_f32_e32 v64, v94, v64
	v_add_f32_e32 v94, v60, v86
	v_sub_f32_e32 v91, v104, v101
	v_add_f32_e32 v83, v101, v104
	v_add_f32_e32 v101, v95, v65
	v_sub_f32_e32 v65, v95, v65
	v_dual_add_f32 v95, v61, v87 :: v_dual_sub_f32 v60, v60, v86
	v_add_f32_e32 v86, v74, v56
	v_sub_f32_e32 v56, v56, v74
	v_add_f32_e32 v74, v94, v99
	v_sub_f32_e32 v61, v61, v87
	;; [unrolled: 2-line block ×3, first 2 shown]
	s_delay_alu instid0(VALU_DEP_4) | instskip(SKIP_2) | instid1(VALU_DEP_3)
	v_dual_add_f32 v75, v95, v101 :: v_dual_add_f32 v74, v86, v74
	v_dual_add_f32 v103, v79, v110 :: v_dual_fmac_f32 v102, 0x3ee1c552, v85
	v_mov_b32_e32 v115, v22
	v_dual_add_f32 v75, v87, v75 :: v_dual_add_f32 v52, v74, v52
	s_delay_alu instid0(VALU_DEP_3)
	v_dual_mov_b32 v119, v20 :: v_dual_add_f32 v90, v103, v102
	v_sub_f32_e32 v93, v105, v108
	v_add_f32_e32 v79, v82, v73
	v_sub_f32_e32 v85, v73, v82
	v_dual_add_f32 v73, v108, v105 :: v_dual_sub_f32 v82, v103, v102
	v_dual_sub_f32 v102, v94, v99 :: v_dual_sub_f32 v103, v95, v101
	v_sub_f32_e32 v99, v99, v86
	v_sub_f32_e32 v101, v101, v87
	ds_load_2addr_b64 v[40:43], v198 offset0:152 offset1:201
	ds_load_2addr_b64 v[44:47], v203 offset0:70 offset1:119
	;; [unrolled: 1-line block ×8, first 2 shown]
	v_dual_sub_f32 v94, v86, v94 :: v_dual_sub_f32 v95, v87, v95
	v_dual_add_f32 v104, v56, v60 :: v_dual_add_f32 v105, v57, v61
	v_dual_sub_f32 v108, v56, v60 :: v_dual_sub_f32 v109, v57, v61
	v_sub_f32_e32 v61, v61, v65
	v_dual_add_f32 v53, v75, v53 :: v_dual_mov_b32 v110, v52
	v_dual_sub_f32 v56, v64, v56 :: v_dual_sub_f32 v57, v65, v57
	v_sub_f32_e32 v60, v60, v64
	v_dual_add_f32 v64, v104, v64 :: v_dual_add_f32 v65, v105, v65
	v_dual_mul_f32 v86, 0x3f4a47b2, v99 :: v_dual_mul_f32 v87, 0x3f4a47b2, v101
	v_mul_f32_e32 v99, 0x3d64c772, v94
	v_mul_f32_e32 v101, 0x3d64c772, v95
	v_dual_mul_f32 v104, 0xbf08b237, v108 :: v_dual_mul_f32 v105, 0xbf08b237, v109
	v_mul_f32_e32 v109, 0xbf5ff5aa, v61
	v_fmac_f32_e32 v110, 0xbf955555, v74
	v_mov_b32_e32 v74, v53
	v_mul_f32_e32 v108, 0xbf5ff5aa, v60
	s_delay_alu instid0(VALU_DEP_4) | instskip(SKIP_1) | instid1(VALU_DEP_4)
	v_dual_mov_b32 v204, v115 :: v_dual_fmac_f32 v109, 0xbeae86e6, v57
	v_mov_b32_e32 v206, v119
	v_fmac_f32_e32 v74, 0xbf955555, v75
	v_dual_fmamk_f32 v75, v94, 0x3d64c772, v86 :: v_dual_fmamk_f32 v94, v95, 0x3d64c772, v87
	v_fma_f32 v95, 0x3f3bfb3b, v102, -v99
	v_fma_f32 v99, 0x3f3bfb3b, v103, -v101
	;; [unrolled: 1-line block ×4, first 2 shown]
	v_fmamk_f32 v101, v56, 0x3eae86e6, v104
	v_fma_f32 v103, 0x3f5ff5aa, v60, -v104
	v_fma_f32 v104, 0x3f5ff5aa, v61, -v105
	v_fmamk_f32 v102, v57, 0x3eae86e6, v105
	v_fmac_f32_e32 v108, 0xbeae86e6, v56
	v_add_f32_e32 v56, v95, v110
	v_add_f32_e32 v57, v99, v74
	v_dual_add_f32 v99, v86, v110 :: v_dual_fmac_f32 v104, 0x3ee1c552, v65
	v_fmac_f32_e32 v109, 0x3ee1c552, v65
	v_add_f32_e32 v105, v75, v110
	v_add_f32_e32 v111, v94, v74
	v_dual_add_f32 v110, v87, v74 :: v_dual_fmac_f32 v101, 0x3ee1c552, v64
	s_delay_alu instid0(VALU_DEP_4)
	v_add_f32_e32 v94, v109, v99
	v_sub_f32_e32 v60, v56, v104
	v_add_f32_e32 v74, v104, v56
	s_wait_dscnt 0x8
	v_dual_sub_f32 v56, v99, v109 :: v_dual_add_f32 v99, v48, v66
	v_sub_f32_e32 v48, v48, v66
	s_wait_dscnt 0x6
	v_add_f32_e32 v66, v62, v44
	v_fmac_f32_e32 v102, 0x3ee1c552, v65
	v_sub_f32_e32 v87, v111, v101
	v_add_f32_e32 v65, v101, v111
	v_add_f32_e32 v101, v49, v67
	v_sub_f32_e32 v49, v49, v67
	v_dual_add_f32 v67, v63, v45 :: v_dual_sub_f32 v44, v62, v44
	v_add_f32_e32 v62, v40, v58
	v_sub_f32_e32 v40, v58, v40
	v_dual_add_f32 v58, v66, v99 :: v_dual_fmac_f32 v103, 0x3ee1c552, v64
	v_dual_fmac_f32 v108, 0x3ee1c552, v64 :: v_dual_sub_f32 v45, v63, v45
	v_add_f32_e32 v63, v41, v59
	v_sub_f32_e32 v41, v59, v41
	s_delay_alu instid0(VALU_DEP_4) | instskip(NEXT) | instid1(VALU_DEP_4)
	v_dual_add_f32 v59, v67, v101 :: v_dual_add_f32 v58, v62, v58
	v_dual_add_f32 v86, v105, v102 :: v_dual_sub_f32 v95, v110, v108
	v_add_f32_e32 v61, v103, v57
	v_sub_f32_e32 v75, v57, v103
	v_add_f32_e32 v57, v108, v110
	v_sub_f32_e32 v64, v105, v102
	v_dual_sub_f32 v102, v66, v99 :: v_dual_sub_f32 v99, v99, v62
	v_add_f32_e32 v104, v40, v44
	v_sub_f32_e32 v108, v40, v44
	v_dual_sub_f32 v110, v48, v40 :: v_dual_add_f32 v59, v63, v59
	v_dual_add_f32 v40, v58, v54 :: v_dual_sub_f32 v103, v67, v101
	v_dual_sub_f32 v101, v101, v63 :: v_dual_sub_f32 v66, v62, v66
	v_sub_f32_e32 v67, v63, v67
	v_add_f32_e32 v105, v41, v45
	v_sub_f32_e32 v109, v41, v45
	v_sub_f32_e32 v111, v49, v41
	;; [unrolled: 1-line block ×3, first 2 shown]
	v_add_f32_e32 v41, v59, v55
	v_mul_f32_e32 v54, 0x3f4a47b2, v99
	v_dual_mul_f32 v99, 0xbf08b237, v108 :: v_dual_mov_b32 v108, v40
	v_dual_sub_f32 v44, v44, v48 :: v_dual_add_f32 v49, v105, v49
	v_mul_f32_e32 v55, 0x3f4a47b2, v101
	v_dual_mul_f32 v62, 0x3d64c772, v66 :: v_dual_mul_f32 v63, 0x3d64c772, v67
	v_mul_f32_e32 v101, 0xbf08b237, v109
	v_mul_f32_e32 v105, 0xbf5ff5aa, v45
	v_fmac_f32_e32 v108, 0xbf955555, v58
	v_mov_b32_e32 v58, v41
	v_add_f32_e32 v48, v104, v48
	v_mul_f32_e32 v104, 0xbf5ff5aa, v44
	v_fma_f32 v62, 0x3f3bfb3b, v102, -v62
	v_fma_f32 v63, 0x3f3bfb3b, v103, -v63
	v_fmac_f32_e32 v58, 0xbf955555, v59
	v_dual_fmamk_f32 v59, v66, 0x3d64c772, v54 :: v_dual_fmamk_f32 v66, v67, 0x3d64c772, v55
	v_fma_f32 v54, 0xbf3bfb3b, v102, -v54
	v_fma_f32 v55, 0xbf3bfb3b, v103, -v55
	v_fmamk_f32 v103, v111, 0x3eae86e6, v101
	v_fma_f32 v44, 0x3f5ff5aa, v44, -v99
	v_fma_f32 v45, 0x3f5ff5aa, v45, -v101
	v_fmac_f32_e32 v105, 0xbeae86e6, v111
	v_fmamk_f32 v102, v110, 0x3eae86e6, v99
	v_dual_fmac_f32 v104, 0xbeae86e6, v110 :: v_dual_add_f32 v99, v59, v108
	v_add_f32_e32 v59, v62, v108
	v_dual_add_f32 v109, v63, v58 :: v_dual_add_f32 v54, v54, v108
	v_dual_fmac_f32 v103, 0x3ee1c552, v49 :: v_dual_fmac_f32 v44, 0x3ee1c552, v48
	v_fmac_f32_e32 v45, 0x3ee1c552, v49
	v_dual_fmac_f32 v105, 0x3ee1c552, v49 :: v_dual_mov_b32 v114, v16
	v_add_f32_e32 v55, v55, v58
	v_dual_add_f32 v101, v66, v58 :: v_dual_fmac_f32 v102, 0x3ee1c552, v48
	v_fmac_f32_e32 v104, 0x3ee1c552, v48
	v_add_f32_e32 v62, v99, v103
	v_add_f32_e32 v66, v105, v54
	v_sub_f32_e32 v48, v59, v45
	v_dual_add_f32 v49, v44, v109 :: v_dual_add_f32 v58, v45, v59
	v_dual_sub_f32 v59, v109, v44 :: v_dual_sub_f32 v44, v54, v105
	s_wait_dscnt 0x2
	v_dual_sub_f32 v54, v99, v103 :: v_dual_add_f32 v99, v50, v36
	v_sub_f32_e32 v36, v50, v36
	v_add_f32_e32 v50, v32, v46
	v_sub_f32_e32 v63, v101, v102
	v_sub_f32_e32 v67, v55, v104
	v_add_f32_e32 v45, v104, v55
	v_add_f32_e32 v55, v102, v101
	;; [unrolled: 1-line block ×3, first 2 shown]
	v_sub_f32_e32 v37, v51, v37
	v_dual_add_f32 v51, v33, v47 :: v_dual_sub_f32 v32, v32, v46
	v_add_f32_e32 v46, v42, v28
	v_sub_f32_e32 v28, v28, v42
	v_add_f32_e32 v42, v50, v99
	v_sub_f32_e32 v33, v33, v47
	;; [unrolled: 2-line block ×3, first 2 shown]
	s_delay_alu instid0(VALU_DEP_4) | instskip(SKIP_2) | instid1(VALU_DEP_3)
	v_dual_add_f32 v43, v51, v101 :: v_dual_add_f32 v42, v46, v42
	v_dual_sub_f32 v102, v50, v99 :: v_dual_sub_f32 v103, v51, v101
	v_sub_f32_e32 v99, v99, v46
	v_dual_add_f32 v43, v47, v43 :: v_dual_add_f32 v24, v42, v24
	v_dual_sub_f32 v101, v101, v47 :: v_dual_sub_f32 v50, v46, v50
	v_dual_sub_f32 v51, v47, v51 :: v_dual_add_f32 v104, v28, v32
	v_dual_add_f32 v105, v29, v33 :: v_dual_sub_f32 v108, v28, v32
	v_sub_f32_e32 v109, v29, v33
	v_sub_f32_e32 v33, v33, v37
	v_dual_add_f32 v25, v43, v25 :: v_dual_mov_b32 v110, v24
	ds_load_2addr_b64 v[16:19], v203 offset0:168 offset1:217
	ds_load_b64 v[96:97], v98 offset:18816
	v_dual_sub_f32 v28, v36, v28 :: v_dual_sub_f32 v29, v37, v29
	v_sub_f32_e32 v32, v32, v36
	v_dual_add_f32 v36, v104, v36 :: v_dual_add_f32 v37, v105, v37
	v_dual_mul_f32 v46, 0x3f4a47b2, v99 :: v_dual_mul_f32 v47, 0x3f4a47b2, v101
	v_mul_f32_e32 v99, 0x3d64c772, v50
	v_mul_f32_e32 v101, 0x3d64c772, v51
	v_dual_mul_f32 v104, 0xbf08b237, v108 :: v_dual_mul_f32 v105, 0xbf08b237, v109
	v_mul_f32_e32 v109, 0xbf5ff5aa, v33
	v_fmac_f32_e32 v110, 0xbf955555, v42
	v_mov_b32_e32 v42, v25
	v_mul_f32_e32 v108, 0xbf5ff5aa, v32
	global_wb scope:SCOPE_SE
	s_wait_dscnt 0x0
	v_fmac_f32_e32 v109, 0xbeae86e6, v29
	s_barrier_signal -1
	v_fmac_f32_e32 v42, 0xbf955555, v43
	v_dual_fmamk_f32 v43, v50, 0x3d64c772, v46 :: v_dual_fmamk_f32 v50, v51, 0x3d64c772, v47
	v_fma_f32 v51, 0x3f3bfb3b, v102, -v99
	v_fma_f32 v99, 0x3f3bfb3b, v103, -v101
	;; [unrolled: 1-line block ×4, first 2 shown]
	v_fmamk_f32 v101, v28, 0x3eae86e6, v104
	v_fma_f32 v103, 0x3f5ff5aa, v32, -v104
	v_fma_f32 v104, 0x3f5ff5aa, v33, -v105
	v_fmamk_f32 v102, v29, 0x3eae86e6, v105
	v_fmac_f32_e32 v108, 0xbeae86e6, v28
	v_add_f32_e32 v28, v51, v110
	v_add_f32_e32 v29, v99, v42
	v_dual_add_f32 v99, v46, v110 :: v_dual_fmac_f32 v104, 0x3ee1c552, v37
	v_fmac_f32_e32 v109, 0x3ee1c552, v37
	v_add_f32_e32 v105, v43, v110
	v_add_f32_e32 v111, v50, v42
	v_dual_add_f32 v110, v47, v42 :: v_dual_fmac_f32 v101, 0x3ee1c552, v36
	s_delay_alu instid0(VALU_DEP_4)
	v_add_f32_e32 v50, v109, v99
	v_sub_f32_e32 v32, v28, v104
	v_add_f32_e32 v42, v104, v28
	v_dual_sub_f32 v28, v99, v109 :: v_dual_add_f32 v99, v20, v38
	v_sub_f32_e32 v20, v20, v38
	v_add_f32_e32 v38, v34, v16
	v_fmac_f32_e32 v102, 0x3ee1c552, v37
	v_sub_f32_e32 v47, v111, v101
	v_add_f32_e32 v37, v101, v111
	v_add_f32_e32 v101, v21, v39
	v_sub_f32_e32 v21, v21, v39
	v_dual_add_f32 v39, v35, v17 :: v_dual_sub_f32 v16, v34, v16
	v_add_f32_e32 v34, v12, v30
	v_sub_f32_e32 v12, v30, v12
	v_dual_add_f32 v30, v38, v99 :: v_dual_fmac_f32 v103, 0x3ee1c552, v36
	v_dual_fmac_f32 v108, 0x3ee1c552, v36 :: v_dual_sub_f32 v17, v35, v17
	v_add_f32_e32 v35, v13, v31
	v_sub_f32_e32 v13, v31, v13
	s_delay_alu instid0(VALU_DEP_4) | instskip(NEXT) | instid1(VALU_DEP_4)
	v_dual_add_f32 v31, v39, v101 :: v_dual_add_f32 v30, v34, v30
	v_dual_add_f32 v46, v105, v102 :: v_dual_sub_f32 v51, v110, v108
	v_add_f32_e32 v33, v103, v29
	v_sub_f32_e32 v43, v29, v103
	v_add_f32_e32 v29, v108, v110
	v_sub_f32_e32 v36, v105, v102
	v_dual_sub_f32 v102, v38, v99 :: v_dual_sub_f32 v99, v99, v34
	v_add_f32_e32 v104, v12, v16
	v_sub_f32_e32 v108, v12, v16
	v_dual_sub_f32 v110, v20, v12 :: v_dual_add_f32 v31, v35, v31
	v_dual_add_f32 v12, v30, v26 :: v_dual_sub_f32 v103, v39, v101
	v_dual_sub_f32 v101, v101, v35 :: v_dual_sub_f32 v38, v34, v38
	v_sub_f32_e32 v39, v35, v39
	v_add_f32_e32 v105, v13, v17
	v_sub_f32_e32 v109, v13, v17
	v_sub_f32_e32 v111, v21, v13
	;; [unrolled: 1-line block ×3, first 2 shown]
	v_add_f32_e32 v13, v31, v27
	v_mul_f32_e32 v26, 0x3f4a47b2, v99
	v_dual_mul_f32 v99, 0xbf08b237, v108 :: v_dual_mov_b32 v108, v12
	v_dual_sub_f32 v16, v16, v20 :: v_dual_add_f32 v21, v105, v21
	v_mul_f32_e32 v27, 0x3f4a47b2, v101
	v_dual_mul_f32 v34, 0x3d64c772, v38 :: v_dual_mul_f32 v35, 0x3d64c772, v39
	v_mul_f32_e32 v101, 0xbf08b237, v109
	v_mul_f32_e32 v105, 0xbf5ff5aa, v17
	v_fmac_f32_e32 v108, 0xbf955555, v30
	v_mov_b32_e32 v30, v13
	v_add_f32_e32 v20, v104, v20
	v_mul_f32_e32 v104, 0xbf5ff5aa, v16
	v_fma_f32 v34, 0x3f3bfb3b, v102, -v34
	v_fma_f32 v35, 0x3f3bfb3b, v103, -v35
	v_fmac_f32_e32 v30, 0xbf955555, v31
	v_dual_fmamk_f32 v31, v38, 0x3d64c772, v26 :: v_dual_fmamk_f32 v38, v39, 0x3d64c772, v27
	v_fma_f32 v26, 0xbf3bfb3b, v102, -v26
	v_fma_f32 v27, 0xbf3bfb3b, v103, -v27
	v_fmamk_f32 v103, v111, 0x3eae86e6, v101
	v_fma_f32 v16, 0x3f5ff5aa, v16, -v99
	v_fma_f32 v17, 0x3f5ff5aa, v17, -v101
	v_fmac_f32_e32 v105, 0xbeae86e6, v111
	v_fmamk_f32 v102, v110, 0x3eae86e6, v99
	v_dual_fmac_f32 v104, 0xbeae86e6, v110 :: v_dual_add_f32 v99, v31, v108
	v_add_f32_e32 v31, v34, v108
	v_dual_add_f32 v109, v35, v30 :: v_dual_add_f32 v26, v26, v108
	v_dual_fmac_f32 v103, 0x3ee1c552, v21 :: v_dual_fmac_f32 v16, 0x3ee1c552, v20
	v_fmac_f32_e32 v17, 0x3ee1c552, v21
	v_fmac_f32_e32 v105, 0x3ee1c552, v21
	v_add_f32_e32 v101, v38, v30
	v_dual_add_f32 v27, v27, v30 :: v_dual_fmac_f32 v102, 0x3ee1c552, v20
	v_fmac_f32_e32 v104, 0x3ee1c552, v20
	v_add_f32_e32 v34, v99, v103
	v_add_f32_e32 v38, v105, v26
	v_sub_f32_e32 v20, v31, v17
	v_dual_add_f32 v21, v16, v109 :: v_dual_add_f32 v30, v17, v31
	v_dual_sub_f32 v31, v109, v16 :: v_dual_sub_f32 v16, v26, v105
	v_dual_sub_f32 v26, v99, v103 :: v_dual_add_f32 v99, v22, v96
	v_sub_f32_e32 v22, v22, v96
	v_add_f32_e32 v96, v4, v18
	v_sub_f32_e32 v35, v101, v102
	v_sub_f32_e32 v39, v27, v104
	v_add_f32_e32 v17, v104, v27
	v_add_f32_e32 v27, v102, v101
	;; [unrolled: 1-line block ×3, first 2 shown]
	v_sub_f32_e32 v23, v23, v97
	v_dual_add_f32 v97, v5, v19 :: v_dual_sub_f32 v4, v4, v18
	v_add_f32_e32 v18, v14, v8
	v_sub_f32_e32 v8, v8, v14
	v_add_f32_e32 v14, v96, v99
	v_sub_f32_e32 v5, v5, v19
	;; [unrolled: 2-line block ×3, first 2 shown]
	s_delay_alu instid0(VALU_DEP_4) | instskip(SKIP_2) | instid1(VALU_DEP_3)
	v_dual_add_f32 v15, v97, v101 :: v_dual_add_f32 v14, v18, v14
	v_dual_sub_f32 v102, v96, v99 :: v_dual_sub_f32 v103, v97, v101
	v_sub_f32_e32 v99, v99, v18
	v_dual_add_f32 v15, v19, v15 :: v_dual_add_f32 v0, v14, v0
	v_dual_sub_f32 v101, v101, v19 :: v_dual_sub_f32 v96, v18, v96
	v_dual_sub_f32 v97, v19, v97 :: v_dual_add_f32 v104, v8, v4
	v_dual_add_f32 v105, v9, v5 :: v_dual_sub_f32 v108, v8, v4
	s_delay_alu instid0(VALU_DEP_4)
	v_dual_add_f32 v1, v15, v1 :: v_dual_mov_b32 v110, v0
	v_dual_sub_f32 v109, v9, v5 :: v_dual_sub_f32 v8, v22, v8
	v_dual_sub_f32 v9, v23, v9 :: v_dual_sub_f32 v4, v4, v22
	v_dual_sub_f32 v5, v5, v23 :: v_dual_add_f32 v18, v104, v22
	v_add_f32_e32 v19, v105, v23
	v_dual_mul_f32 v22, 0x3f4a47b2, v99 :: v_dual_mul_f32 v23, 0x3f4a47b2, v101
	v_mul_f32_e32 v99, 0x3d64c772, v96
	v_mul_f32_e32 v101, 0x3d64c772, v97
	;; [unrolled: 1-line block ×3, first 2 shown]
	v_fmac_f32_e32 v110, 0xbf955555, v14
	v_dual_mov_b32 v14, v1 :: v_dual_mul_f32 v105, 0xbf08b237, v109
	v_dual_mul_f32 v108, 0xbf5ff5aa, v4 :: v_dual_mul_f32 v109, 0xbf5ff5aa, v5
	s_delay_alu instid0(VALU_DEP_4) | instskip(NEXT) | instid1(VALU_DEP_3)
	v_fma_f32 v4, 0x3f5ff5aa, v4, -v104
	v_fmac_f32_e32 v14, 0xbf955555, v15
	v_dual_fmamk_f32 v15, v96, 0x3d64c772, v22 :: v_dual_fmamk_f32 v96, v97, 0x3d64c772, v23
	v_fma_f32 v97, 0x3f3bfb3b, v102, -v99
	v_fma_f32 v99, 0x3f3bfb3b, v103, -v101
	;; [unrolled: 1-line block ×3, first 2 shown]
	v_fmamk_f32 v102, v9, 0x3eae86e6, v105
	v_fma_f32 v5, 0x3f5ff5aa, v5, -v105
	v_fmac_f32_e32 v109, 0xbeae86e6, v9
	v_add_f32_e32 v99, v99, v14
	v_fmac_f32_e32 v4, 0x3ee1c552, v18
	v_fmac_f32_e32 v102, 0x3ee1c552, v19
	;; [unrolled: 1-line block ×4, first 2 shown]
	s_barrier_wait -1
	v_add_f32_e32 v9, v4, v99
	v_sub_f32_e32 v19, v99, v4
	v_mul_lo_u16 v99, v100, 7
	global_inv scope:SCOPE_SE
	v_fma_f32 v23, 0xbf3bfb3b, v103, -v23
	v_fmamk_f32 v101, v8, 0x3eae86e6, v104
	v_fmac_f32_e32 v108, 0xbeae86e6, v8
	v_dual_add_f32 v104, v97, v110 :: v_dual_and_b32 v99, 0xffff, v99
	v_add_f32_e32 v15, v15, v110
	v_add_f32_e32 v103, v96, v14
	;; [unrolled: 1-line block ×3, first 2 shown]
	s_delay_alu instid0(VALU_DEP_4)
	v_lshlrev_b32_e32 v99, 3, v99
	ds_store_b64 v99, v[2:3]
	ds_store_2addr_b64 v99, v[80:81], v[88:89] offset0:1 offset1:2
	v_mul_u32_u24_e32 v2, 7, v118
	scratch_store_b32 off, v99, off offset:904 ; 4-byte Folded Spill
	ds_store_2addr_b64 v99, v[10:11], v[76:77] offset0:3 offset1:4
	ds_store_2addr_b64 v99, v[6:7], v[68:69] offset0:5 offset1:6
	v_add_f32_e32 v14, v23, v14
	v_fmac_f32_e32 v101, 0x3ee1c552, v18
	v_lshlrev_b32_e32 v2, 3, v2
	ds_store_b64 v2, v[70:71]
	ds_store_2addr_b64 v2, v[90:91], v[92:93] offset0:1 offset1:2
	v_and_b32_e32 v70, 0xff, v100
	scratch_store_b32 off, v2, off offset:924 ; 4-byte Folded Spill
	ds_store_2addr_b64 v2, v[78:79], v[84:85] offset0:3 offset1:4
	ds_store_2addr_b64 v2, v[72:73], v[82:83] offset0:5 offset1:6
	v_mul_u32_u24_e32 v2, 7, v106
	v_fmac_f32_e32 v108, 0x3ee1c552, v18
	v_mul_lo_u16 v70, v70, 37
	v_sub_f32_e32 v8, v104, v5
	v_add_f32_e32 v18, v5, v104
	v_lshlrev_b32_e32 v2, 3, v2
	ds_store_b64 v2, v[52:53]
	ds_store_2addr_b64 v2, v[86:87], v[94:95] offset0:1 offset1:2
	v_lshrrev_b16 v70, 8, v70
	scratch_store_b32 off, v2, off offset:884 ; 4-byte Folded Spill
	ds_store_2addr_b64 v2, v[60:61], v[74:75] offset0:3 offset1:4
	ds_store_2addr_b64 v2, v[56:57], v[64:65] offset0:5 offset1:6
	v_mul_u32_u24_e32 v2, 7, v107
	v_add_f32_e32 v22, v15, v102
	v_sub_nc_u16 v71, v100, v70
	v_sub_f32_e32 v23, v103, v101
	v_add_f32_e32 v96, v109, v105
	v_dual_sub_f32 v97, v14, v108 :: v_dual_lshlrev_b32 v2, 3, v2
	s_delay_alu instid0(VALU_DEP_4) | instskip(SKIP_2) | instid1(VALU_DEP_3)
	v_lshrrev_b16 v71, 1, v71
	v_dual_sub_f32 v4, v105, v109 :: v_dual_add_f32 v5, v108, v14
	v_dual_sub_f32 v14, v15, v102 :: v_dual_add_f32 v15, v101, v103
	v_and_b32_e32 v71, 0x7f, v71
	s_delay_alu instid0(VALU_DEP_1) | instskip(NEXT) | instid1(VALU_DEP_1)
	v_add_nc_u16 v70, v71, v70
	v_lshrrev_b16 v134, 2, v70
	s_delay_alu instid0(VALU_DEP_1) | instskip(NEXT) | instid1(VALU_DEP_1)
	v_mul_lo_u16 v70, v134, 7
	v_sub_nc_u16 v70, v100, v70
	s_delay_alu instid0(VALU_DEP_1)
	v_and_b32_e32 v135, 0xff, v70
	ds_store_b64 v2, v[40:41]
	ds_store_2addr_b64 v2, v[62:63], v[66:67] offset0:1 offset1:2
	scratch_store_b32 off, v2, off offset:848 ; 4-byte Folded Spill
	ds_store_2addr_b64 v2, v[48:49], v[58:59] offset0:3 offset1:4
	ds_store_2addr_b64 v2, v[44:45], v[54:55] offset0:5 offset1:6
	v_mul_u32_u24_e32 v2, 7, v112
	v_mul_u32_u24_e32 v70, 6, v135
	s_delay_alu instid0(VALU_DEP_2)
	v_lshlrev_b32_e32 v2, 3, v2
	ds_store_b64 v2, v[24:25]
	ds_store_2addr_b64 v2, v[46:47], v[50:51] offset0:1 offset1:2
	scratch_store_b32 off, v2, off offset:752 ; 4-byte Folded Spill
	ds_store_2addr_b64 v2, v[32:33], v[42:43] offset0:3 offset1:4
	ds_store_2addr_b64 v2, v[28:29], v[36:37] offset0:5 offset1:6
	v_mul_u32_u24_e32 v2, 7, v200
	v_lshlrev_b32_e32 v70, 3, v70
	s_delay_alu instid0(VALU_DEP_2)
	v_lshlrev_b32_e32 v2, 3, v2
	ds_store_b64 v2, v[12:13]
	ds_store_2addr_b64 v2, v[34:35], v[38:39] offset0:1 offset1:2
	scratch_store_b32 off, v2, off offset:652 ; 4-byte Folded Spill
	ds_store_2addr_b64 v2, v[20:21], v[30:31] offset0:3 offset1:4
	ds_store_2addr_b64 v2, v[16:17], v[26:27] offset0:5 offset1:6
	v_mul_u32_u24_e32 v2, 7, v217
	s_delay_alu instid0(VALU_DEP_1)
	v_lshlrev_b32_e32 v2, 3, v2
	ds_store_b64 v2, v[0:1]
	ds_store_2addr_b64 v2, v[22:23], v[96:97] offset0:1 offset1:2
	scratch_store_b32 off, v2, off offset:584 ; 4-byte Folded Spill
	ds_store_2addr_b64 v2, v[8:9], v[18:19] offset0:3 offset1:4
	ds_store_2addr_b64 v2, v[4:5], v[14:15] offset0:5 offset1:6
	global_wb scope:SCOPE_SE
	s_wait_storecnt_dscnt 0x0
	s_barrier_signal -1
	s_barrier_wait -1
	global_inv scope:SCOPE_SE
	ds_load_2addr_b64 v[12:15], v98 offset1:49
	ds_load_2addr_b64 v[0:3], v117 offset0:38 offset1:87
	ds_load_2addr_b64 v[76:79], v197 offset0:174 offset1:223
	;; [unrolled: 1-line block ×23, first 2 shown]
	ds_load_b64 v[68:69], v98 offset:18816
	s_clause 0x2
	global_load_b128 v[108:111], v70, s[6:7] offset:32
	global_load_b128 v[122:125], v70, s[6:7] offset:16
	global_load_b128 v[128:131], v70, s[6:7]
	scratch_store_b32 off, v118, off offset:504 ; 4-byte Folded Spill
	v_and_b32_e32 v115, 0xff, v112
	s_wait_loadcnt 0x2
	scratch_store_b128 off, v[108:111], off offset:552 ; 16-byte Folded Spill
	s_wait_loadcnt_dscnt 0x114
	v_mul_f32_e32 v189, v84, v125
	s_wait_loadcnt 0x0
	v_mul_f32_e32 v70, v3, v129
	v_dual_mul_f32 v146, v2, v129 :: v_dual_mul_f32 v191, v76, v131
	s_clause 0x1
	scratch_store_b128 off, v[128:131], off offset:536
	scratch_store_b128 off, v[122:125], off offset:520
	v_fma_f32 v113, v2, v128, -v70
	v_mul_f32_e32 v2, v77, v131
	v_dual_fmac_f32 v146, v3, v128 :: v_dual_mul_f32 v3, v26, v123
	v_fmac_f32_e32 v191, v77, v130
	v_fmac_f32_e32 v189, v85, v124
	s_delay_alu instid0(VALU_DEP_4) | instskip(SKIP_2) | instid1(VALU_DEP_2)
	v_fma_f32 v190, v76, v130, -v2
	v_mul_f32_e32 v2, v27, v123
	v_fmac_f32_e32 v3, v27, v122
	v_fma_f32 v2, v26, v122, -v2
	v_mul_f32_e32 v26, v85, v125
	s_delay_alu instid0(VALU_DEP_1) | instskip(SKIP_2) | instid1(VALU_DEP_1)
	v_fma_f32 v188, v84, v124, -v26
	s_wait_dscnt 0x13
	v_mul_f32_e32 v26, v19, v109
	v_fma_f32 v196, v18, v108, -v26
	v_and_b32_e32 v26, 0xff, v118
	v_mul_f32_e32 v18, v18, v109
	s_delay_alu instid0(VALU_DEP_2) | instskip(NEXT) | instid1(VALU_DEP_2)
	v_mul_lo_u16 v26, v26, 37
	v_fmac_f32_e32 v18, v19, v108
	s_wait_dscnt 0x12
	v_mul_f32_e32 v19, v103, v111
	v_mul_f32_e32 v108, v102, v111
	v_lshrrev_b16 v26, 8, v26
	s_delay_alu instid0(VALU_DEP_3) | instskip(NEXT) | instid1(VALU_DEP_3)
	v_fma_f32 v19, v102, v110, -v19
	v_fmac_f32_e32 v108, v103, v110
	s_delay_alu instid0(VALU_DEP_3) | instskip(NEXT) | instid1(VALU_DEP_1)
	v_sub_nc_u16 v27, v118, v26
	v_lshrrev_b16 v27, 1, v27
	s_delay_alu instid0(VALU_DEP_1) | instskip(NEXT) | instid1(VALU_DEP_1)
	v_and_b32_e32 v27, 0x7f, v27
	v_add_nc_u16 v26, v27, v26
	s_delay_alu instid0(VALU_DEP_1) | instskip(NEXT) | instid1(VALU_DEP_1)
	v_lshrrev_b16 v132, 2, v26
	v_mul_lo_u16 v26, v132, 7
	s_delay_alu instid0(VALU_DEP_1) | instskip(NEXT) | instid1(VALU_DEP_1)
	v_sub_nc_u16 v26, v118, v26
	v_and_b32_e32 v133, 0xff, v26
	s_delay_alu instid0(VALU_DEP_1) | instskip(NEXT) | instid1(VALU_DEP_1)
	v_mul_u32_u24_e32 v26, 6, v133
	v_lshlrev_b32_e32 v26, 3, v26
	s_clause 0x2
	global_load_b128 v[122:125], v26, s[6:7] offset:32
	global_load_b128 v[128:131], v26, s[6:7] offset:16
	global_load_b128 v[136:139], v26, s[6:7]
	s_wait_loadcnt_dscnt 0x20f
	v_mul_f32_e32 v181, v80, v123
	s_wait_loadcnt 0x1
	v_mul_f32_e32 v70, v87, v131
	v_mul_f32_e32 v175, v86, v131
	s_clause 0x1
	scratch_store_b128 off, v[128:131], off offset:692
	scratch_store_b128 off, v[122:125], off offset:708
	s_wait_loadcnt 0x0
	v_mul_f32_e32 v26, v93, v137
	v_fma_f32 v174, v86, v130, -v70
	v_dual_mul_f32 v70, v81, v123 :: v_dual_fmac_f32 v175, v87, v130
	v_and_b32_e32 v87, 0xff, v106
	s_delay_alu instid0(VALU_DEP_4) | instskip(SKIP_1) | instid1(VALU_DEP_4)
	v_fma_f32 v102, v92, v136, -v26
	v_mul_f32_e32 v103, v92, v137
	v_fma_f32 v180, v80, v122, -v70
	v_mul_f32_e32 v70, v105, v125
	v_mul_f32_e32 v26, v79, v139
	v_mul_f32_e32 v101, v78, v139
	v_mul_f32_e32 v183, v104, v125
	scratch_store_b128 off, v[136:139], off offset:660 ; 16-byte Folded Spill
	v_fma_f32 v182, v104, v124, -v70
	v_mul_lo_u16 v70, v87, 37
	v_fmac_f32_e32 v103, v93, v136
	v_fma_f32 v100, v78, v138, -v26
	v_fmac_f32_e32 v101, v79, v138
	v_fmac_f32_e32 v181, v81, v122
	v_lshrrev_b16 v70, 8, v70
	v_fmac_f32_e32 v183, v105, v124
	v_mul_f32_e32 v27, v88, v129
	v_mul_f32_e32 v26, v89, v129
	s_delay_alu instid0(VALU_DEP_4) | instskip(NEXT) | instid1(VALU_DEP_3)
	v_sub_nc_u16 v71, v106, v70
	v_dual_fmac_f32 v27, v89, v128 :: v_dual_mov_b32 v202, v114
	s_delay_alu instid0(VALU_DEP_3) | instskip(NEXT) | instid1(VALU_DEP_3)
	v_fma_f32 v26, v88, v128, -v26
	v_lshrrev_b16 v71, 1, v71
	s_delay_alu instid0(VALU_DEP_1) | instskip(NEXT) | instid1(VALU_DEP_1)
	v_and_b32_e32 v71, 0x7f, v71
	v_add_nc_u16 v70, v71, v70
	s_delay_alu instid0(VALU_DEP_1) | instskip(NEXT) | instid1(VALU_DEP_1)
	v_lshrrev_b16 v130, 2, v70
	v_mul_lo_u16 v70, v130, 7
	s_delay_alu instid0(VALU_DEP_1) | instskip(NEXT) | instid1(VALU_DEP_1)
	v_sub_nc_u16 v70, v106, v70
	v_and_b32_e32 v131, 0xff, v70
	s_delay_alu instid0(VALU_DEP_1) | instskip(NEXT) | instid1(VALU_DEP_1)
	v_mul_u32_u24_e32 v70, 6, v131
	v_lshlrev_b32_e32 v70, 3, v70
	s_clause 0x2
	global_load_b128 v[76:79], v70, s[6:7] offset:32
	global_load_b128 v[122:125], v70, s[6:7] offset:16
	global_load_b128 v[136:139], v70, s[6:7]
	s_wait_loadcnt_dscnt 0x20b
	v_mul_f32_e32 v173, v60, v79
	s_wait_loadcnt 0x1
	v_mul_f32_e32 v169, v64, v125
	s_wait_loadcnt 0x0
	v_mul_f32_e32 v70, v95, v137
	v_mul_f32_e32 v167, v94, v137
	s_clause 0x1
	scratch_store_b128 off, v[122:125], off offset:852
	scratch_store_b128 off, v[136:139], off offset:832
	v_fmac_f32_e32 v173, v61, v78
	v_fma_f32 v166, v94, v136, -v70
	v_dual_mul_f32 v70, v73, v139 :: v_dual_fmac_f32 v167, v95, v136
	v_and_b32_e32 v86, 0xff, v107
	scratch_store_b128 off, v[76:79], off offset:868 ; 16-byte Folded Spill
	v_mul_f32_e32 v163, v72, v139
	v_fma_f32 v162, v72, v138, -v70
	v_dual_mul_f32 v70, v91, v123 :: v_dual_mul_f32 v171, v82, v77
	v_mul_f32_e32 v165, v90, v123
	s_delay_alu instid0(VALU_DEP_4) | instskip(SKIP_1) | instid1(VALU_DEP_4)
	v_fmac_f32_e32 v163, v73, v138
	v_fmac_f32_e32 v169, v65, v124
	v_fma_f32 v164, v90, v122, -v70
	v_dual_mul_f32 v70, v65, v125 :: v_dual_fmac_f32 v171, v83, v76
	v_fmac_f32_e32 v165, v91, v122
	s_delay_alu instid0(VALU_DEP_2) | instskip(SKIP_1) | instid1(VALU_DEP_1)
	v_fma_f32 v168, v64, v124, -v70
	v_mul_f32_e32 v64, v83, v77
	v_fma_f32 v170, v82, v76, -v64
	v_mul_f32_e32 v64, v61, v79
	s_delay_alu instid0(VALU_DEP_1) | instskip(SKIP_1) | instid1(VALU_DEP_1)
	v_fma_f32 v172, v60, v78, -v64
	v_mul_lo_u16 v60, v86, 37
	v_lshrrev_b16 v60, 8, v60
	s_delay_alu instid0(VALU_DEP_1) | instskip(NEXT) | instid1(VALU_DEP_1)
	v_sub_nc_u16 v61, v107, v60
	v_lshrrev_b16 v61, 1, v61
	s_delay_alu instid0(VALU_DEP_1) | instskip(NEXT) | instid1(VALU_DEP_1)
	v_and_b32_e32 v61, 0x7f, v61
	v_add_nc_u16 v60, v61, v60
	s_delay_alu instid0(VALU_DEP_1) | instskip(NEXT) | instid1(VALU_DEP_1)
	v_lshrrev_b16 v126, 2, v60
	v_mul_lo_u16 v60, v126, 7
	s_delay_alu instid0(VALU_DEP_1) | instskip(NEXT) | instid1(VALU_DEP_1)
	v_sub_nc_u16 v60, v107, v60
	v_and_b32_e32 v114, 0xff, v60
	s_delay_alu instid0(VALU_DEP_1) | instskip(NEXT) | instid1(VALU_DEP_1)
	v_mul_u32_u24_e32 v60, 6, v114
	v_lshlrev_b32_e32 v60, 3, v60
	s_clause 0x2
	global_load_b128 v[140:143], v60, s[6:7] offset:32
	global_load_b128 v[148:151], v60, s[6:7] offset:16
	global_load_b128 v[156:159], v60, s[6:7]
	s_wait_loadcnt_dscnt 0x108
	v_dual_mul_f32 v147, v32, v141 :: v_dual_mul_f32 v144, v66, v151
	s_wait_loadcnt 0x0
	v_mul_f32_e32 v60, v57, v157
	v_dual_mul_f32 v138, v56, v157 :: v_dual_mul_f32 v161, v62, v143
	s_delay_alu instid0(VALU_DEP_3) | instskip(SKIP_1) | instid1(VALU_DEP_4)
	v_fmac_f32_e32 v147, v33, v140
	v_mul_f32_e32 v61, v74, v159
	v_fma_f32 v137, v56, v156, -v60
	v_mul_f32_e32 v56, v75, v159
	v_dual_fmac_f32 v138, v57, v156 :: v_dual_mul_f32 v57, v36, v149
	s_delay_alu instid0(VALU_DEP_4) | instskip(SKIP_1) | instid1(VALU_DEP_4)
	v_fmac_f32_e32 v61, v75, v158
	v_fmac_f32_e32 v161, v63, v142
	v_fma_f32 v60, v74, v158, -v56
	v_mul_f32_e32 v56, v37, v149
	v_fmac_f32_e32 v57, v37, v148
	v_add_f32_e32 v37, v27, v175
	v_sub_f32_e32 v27, v175, v27
	s_delay_alu instid0(VALU_DEP_4) | instskip(SKIP_1) | instid1(VALU_DEP_1)
	v_fma_f32 v56, v36, v148, -v56
	v_mul_f32_e32 v36, v67, v151
	v_fma_f32 v139, v66, v150, -v36
	v_mul_f32_e32 v36, v33, v141
	s_delay_alu instid0(VALU_DEP_1) | instskip(SKIP_1) | instid1(VALU_DEP_1)
	v_fma_f32 v145, v32, v140, -v36
	v_mul_f32_e32 v32, v63, v143
	v_fma_f32 v160, v62, v142, -v32
	v_mul_lo_u16 v32, v115, 37
	s_delay_alu instid0(VALU_DEP_1) | instskip(NEXT) | instid1(VALU_DEP_1)
	v_lshrrev_b16 v32, 8, v32
	v_sub_nc_u16 v33, v112, v32
	s_delay_alu instid0(VALU_DEP_1) | instskip(NEXT) | instid1(VALU_DEP_1)
	v_lshrrev_b16 v33, 1, v33
	v_and_b32_e32 v33, 0x7f, v33
	s_delay_alu instid0(VALU_DEP_1) | instskip(NEXT) | instid1(VALU_DEP_1)
	v_add_nc_u16 v32, v33, v32
	v_lshrrev_b16 v124, 2, v32
	s_delay_alu instid0(VALU_DEP_1) | instskip(NEXT) | instid1(VALU_DEP_1)
	v_mul_lo_u16 v32, v124, 7
	v_sub_nc_u16 v32, v112, v32
	s_delay_alu instid0(VALU_DEP_1) | instskip(NEXT) | instid1(VALU_DEP_1)
	v_and_b32_e32 v125, 0xff, v32
	v_mul_u32_u24_e32 v32, 6, v125
	s_delay_alu instid0(VALU_DEP_1)
	v_lshlrev_b32_e32 v32, 3, v32
	s_clause 0x2
	global_load_b128 v[176:179], v32, s[6:7] offset:32
	global_load_b128 v[184:187], v32, s[6:7] offset:16
	global_load_b128 v[192:195], v32, s[6:7]
	s_wait_loadcnt_dscnt 0x204
	v_dual_mul_f32 v136, v28, v179 :: v_dual_mul_f32 v73, v34, v177
	s_wait_loadcnt 0x0
	v_dual_mul_f32 v32, v59, v193 :: v_dual_mul_f32 v63, v52, v195
	s_delay_alu instid0(VALU_DEP_2) | instskip(NEXT) | instid1(VALU_DEP_3)
	v_dual_mul_f32 v65, v38, v185 :: v_dual_fmac_f32 v136, v29, v178
	v_fmac_f32_e32 v73, v35, v176
	s_delay_alu instid0(VALU_DEP_3) | instskip(SKIP_4) | instid1(VALU_DEP_4)
	v_fma_f32 v66, v58, v192, -v32
	v_mul_f32_e32 v32, v53, v195
	v_mul_f32_e32 v71, v48, v187
	v_fmac_f32_e32 v63, v53, v194
	v_fmac_f32_e32 v65, v39, v184
	v_fma_f32 v62, v52, v194, -v32
	s_delay_alu instid0(VALU_DEP_4) | instskip(NEXT) | instid1(VALU_DEP_1)
	v_dual_mul_f32 v32, v39, v185 :: v_dual_fmac_f32 v71, v49, v186
	v_fma_f32 v64, v38, v184, -v32
	v_mul_f32_e32 v32, v49, v187
	v_sub_f32_e32 v49, v169, v165
	s_delay_alu instid0(VALU_DEP_2) | instskip(SKIP_2) | instid1(VALU_DEP_2)
	v_fma_f32 v70, v48, v186, -v32
	v_mul_f32_e32 v32, v35, v177
	v_sub_f32_e32 v48, v168, v164
	v_fma_f32 v72, v34, v176, -v32
	v_mul_f32_e32 v32, v29, v179
	s_delay_alu instid0(VALU_DEP_1) | instskip(SKIP_1) | instid1(VALU_DEP_1)
	v_fma_f32 v99, v28, v178, -v32
	v_mul_u32_u24_e32 v28, 0x2493, v201
	v_lshrrev_b32_e32 v28, 16, v28
	s_delay_alu instid0(VALU_DEP_1) | instskip(NEXT) | instid1(VALU_DEP_1)
	v_sub_nc_u16 v29, v200, v28
	v_lshrrev_b16 v29, 1, v29
	s_delay_alu instid0(VALU_DEP_1) | instskip(NEXT) | instid1(VALU_DEP_1)
	v_add_nc_u16 v28, v29, v28
	v_lshrrev_b16 v128, 2, v28
	s_delay_alu instid0(VALU_DEP_1) | instskip(NEXT) | instid1(VALU_DEP_1)
	v_mul_lo_u16 v28, v128, 7
	v_sub_nc_u16 v129, v200, v28
	s_delay_alu instid0(VALU_DEP_1) | instskip(NEXT) | instid1(VALU_DEP_1)
	v_mul_lo_u16 v28, v129, 6
	v_and_b32_e32 v28, 0xffff, v28
	s_delay_alu instid0(VALU_DEP_1)
	v_lshlrev_b32_e32 v28, 3, v28
	s_clause 0x2
	global_load_b128 v[212:215], v28, s[6:7] offset:32
	global_load_b128 v[220:223], v28, s[6:7] offset:16
	global_load_b128 v[224:227], v28, s[6:7]
	s_wait_loadcnt_dscnt 0x201
	v_mul_f32_e32 v91, v20, v213
	s_wait_loadcnt 0x0
	v_dual_mul_f32 v93, v30, v215 :: v_dual_mul_f32 v28, v45, v225
	v_mul_f32_e32 v81, v40, v221
	v_mul_f32_e32 v75, v44, v225
	v_fmac_f32_e32 v91, v21, v212
	s_delay_alu instid0(VALU_DEP_4)
	v_fmac_f32_e32 v93, v31, v214
	v_fma_f32 v74, v44, v224, -v28
	v_dual_mul_f32 v28, v55, v227 :: v_dual_fmac_f32 v81, v41, v220
	v_fmac_f32_e32 v75, v45, v224
	v_mul_f32_e32 v83, v54, v227
	v_mul_f32_e32 v89, v50, v223
	s_delay_alu instid0(VALU_DEP_4) | instskip(NEXT) | instid1(VALU_DEP_3)
	v_fma_f32 v82, v54, v226, -v28
	v_dual_mul_f32 v28, v41, v221 :: v_dual_fmac_f32 v83, v55, v226
	s_delay_alu instid0(VALU_DEP_3) | instskip(NEXT) | instid1(VALU_DEP_2)
	v_fmac_f32_e32 v89, v51, v222
	v_fma_f32 v80, v40, v220, -v28
	v_mul_f32_e32 v28, v51, v223
	s_delay_alu instid0(VALU_DEP_1) | instskip(SKIP_1) | instid1(VALU_DEP_1)
	v_fma_f32 v88, v50, v222, -v28
	v_mul_f32_e32 v28, v21, v213
	v_fma_f32 v90, v20, v212, -v28
	v_mul_f32_e32 v20, v31, v215
	s_delay_alu instid0(VALU_DEP_1) | instskip(SKIP_1) | instid1(VALU_DEP_1)
	v_fma_f32 v92, v30, v214, -v20
	v_mul_u32_u24_e32 v20, 0x2493, v216
	v_lshrrev_b32_e32 v20, 16, v20
	s_delay_alu instid0(VALU_DEP_1) | instskip(NEXT) | instid1(VALU_DEP_1)
	v_sub_nc_u16 v21, v217, v20
	v_lshrrev_b16 v21, 1, v21
	s_delay_alu instid0(VALU_DEP_1) | instskip(SKIP_1) | instid1(VALU_DEP_2)
	v_add_nc_u16 v20, v21, v20
	v_add_f32_e32 v21, v190, v196
	v_lshrrev_b16 v118, 2, v20
	s_delay_alu instid0(VALU_DEP_1) | instskip(NEXT) | instid1(VALU_DEP_1)
	v_mul_lo_u16 v20, v118, 7
	v_sub_nc_u16 v119, v217, v20
	s_delay_alu instid0(VALU_DEP_1) | instskip(NEXT) | instid1(VALU_DEP_1)
	v_mul_lo_u16 v20, v119, 6
	v_and_b32_e32 v20, 0xffff, v20
	s_delay_alu instid0(VALU_DEP_1)
	v_lshlrev_b32_e32 v20, 3, v20
	s_clause 0x2
	global_load_b128 v[152:155], v20, s[6:7] offset:32
	global_load_b128 v[232:235], v20, s[6:7] offset:16
	global_load_b128 v[236:239], v20, s[6:7]
	global_wb scope:SCOPE_SE
	s_wait_storecnt 0x0
	s_wait_loadcnt_dscnt 0x0
	s_barrier_signal -1
	s_barrier_wait -1
	global_inv scope:SCOPE_SE
	v_mul_f32_e32 v97, v22, v153
	v_dual_mul_f32 v95, v16, v235 :: v_dual_mul_f32 v20, v47, v237
	v_mul_f32_e32 v79, v24, v239
	v_mul_f32_e32 v77, v46, v237
	s_delay_alu instid0(VALU_DEP_4) | instskip(NEXT) | instid1(VALU_DEP_4)
	v_fmac_f32_e32 v97, v23, v152
	v_fmac_f32_e32 v95, v17, v234
	v_fma_f32 v76, v46, v236, -v20
	v_mul_f32_e32 v20, v25, v239
	v_fmac_f32_e32 v79, v25, v238
	v_add_f32_e32 v25, v3, v189
	v_sub_f32_e32 v3, v189, v3
	v_mul_f32_e32 v85, v42, v233
	v_fma_f32 v78, v24, v238, -v20
	v_mul_f32_e32 v20, v43, v233
	v_add_f32_e32 v24, v2, v188
	v_dual_sub_f32 v2, v188, v2 :: v_dual_fmac_f32 v77, v47, v236
	v_fmac_f32_e32 v85, v43, v232
	s_delay_alu instid0(VALU_DEP_4) | instskip(SKIP_2) | instid1(VALU_DEP_2)
	v_fma_f32 v84, v42, v232, -v20
	v_dual_mul_f32 v20, v17, v235 :: v_dual_add_f32 v17, v146, v108
	v_mul_f32_e32 v105, v68, v155
	v_fma_f32 v94, v16, v234, -v20
	v_dual_mul_f32 v16, v23, v153 :: v_dual_sub_f32 v23, v190, v196
	s_delay_alu instid0(VALU_DEP_3) | instskip(NEXT) | instid1(VALU_DEP_2)
	v_dual_sub_f32 v20, v146, v108 :: v_dual_fmac_f32 v105, v69, v154
	v_fma_f32 v96, v22, v152, -v16
	v_mul_f32_e32 v16, v69, v155
	v_add_f32_e32 v22, v191, v18
	v_sub_f32_e32 v18, v191, v18
	v_sub_f32_e32 v34, v2, v23
	s_delay_alu instid0(VALU_DEP_4) | instskip(SKIP_4) | instid1(VALU_DEP_4)
	v_fma_f32 v104, v68, v154, -v16
	v_add_f32_e32 v16, v113, v19
	v_sub_f32_e32 v19, v113, v19
	v_add_f32_e32 v29, v22, v17
	v_dual_sub_f32 v31, v22, v17 :: v_dual_sub_f32 v32, v25, v22
	v_add_f32_e32 v28, v21, v16
	v_sub_f32_e32 v30, v21, v16
	v_sub_f32_e32 v16, v16, v24
	v_dual_sub_f32 v21, v24, v21 :: v_dual_add_f32 v22, v2, v23
	s_delay_alu instid0(VALU_DEP_4) | instskip(SKIP_3) | instid1(VALU_DEP_4)
	v_dual_add_f32 v24, v24, v28 :: v_dual_sub_f32 v17, v17, v25
	v_sub_f32_e32 v35, v3, v18
	v_sub_f32_e32 v2, v19, v2
	v_dual_sub_f32 v36, v23, v19 :: v_dual_add_f32 v25, v25, v29
	v_dual_add_f32 v19, v22, v19 :: v_dual_add_f32 v22, v24, v12
	v_dual_add_f32 v33, v3, v18 :: v_dual_sub_f32 v18, v18, v20
	s_delay_alu instid0(VALU_DEP_3) | instskip(SKIP_1) | instid1(VALU_DEP_4)
	v_add_f32_e32 v23, v25, v13
	v_mul_f32_e32 v29, 0xbf08b237, v35
	v_mov_b32_e32 v35, v22
	v_dual_sub_f32 v3, v20, v3 :: v_dual_mul_f32 v12, 0x3f4a47b2, v16
	v_mul_f32_e32 v13, 0x3f4a47b2, v17
	v_dual_mul_f32 v16, 0x3d64c772, v21 :: v_dual_mul_f32 v17, 0x3d64c772, v32
	v_mul_f32_e32 v28, 0xbf08b237, v34
	v_mul_f32_e32 v34, 0xbf5ff5aa, v18
	v_dual_fmac_f32 v35, 0xbf955555, v24 :: v_dual_mov_b32 v24, v23
	v_add_f32_e32 v20, v33, v20
	v_mul_f32_e32 v33, 0xbf5ff5aa, v36
	v_fmamk_f32 v21, v21, 0x3d64c772, v12
	v_fma_f32 v16, 0x3f3bfb3b, v30, -v16
	v_fmac_f32_e32 v24, 0xbf955555, v25
	v_fmamk_f32 v25, v32, 0x3d64c772, v13
	v_fma_f32 v17, 0x3f3bfb3b, v31, -v17
	v_fma_f32 v12, 0xbf3bfb3b, v30, -v12
	;; [unrolled: 1-line block ×3, first 2 shown]
	v_dual_fmamk_f32 v30, v2, 0x3eae86e6, v28 :: v_dual_fmamk_f32 v31, v3, 0x3eae86e6, v29
	v_fma_f32 v28, 0x3f5ff5aa, v36, -v28
	v_fma_f32 v29, 0x3f5ff5aa, v18, -v29
	v_dual_fmac_f32 v34, 0xbeae86e6, v3 :: v_dual_fmac_f32 v33, 0xbeae86e6, v2
	v_dual_add_f32 v16, v16, v35 :: v_dual_add_f32 v17, v17, v24
	v_add_f32_e32 v32, v12, v35
	s_delay_alu instid0(VALU_DEP_4) | instskip(NEXT) | instid1(VALU_DEP_4)
	v_dual_fmac_f32 v28, 0x3ee1c552, v19 :: v_dual_fmac_f32 v29, 0x3ee1c552, v20
	v_fmac_f32_e32 v34, 0x3ee1c552, v20
	v_add_f32_e32 v2, v21, v35
	v_add_f32_e32 v35, v13, v24
	v_fmac_f32_e32 v31, 0x3ee1c552, v20
	s_delay_alu instid0(VALU_DEP_4)
	v_dual_fmac_f32 v33, 0x3ee1c552, v19 :: v_dual_add_f32 v18, v34, v32
	v_sub_f32_e32 v20, v16, v29
	v_dual_add_f32 v21, v28, v17 :: v_dual_add_f32 v12, v29, v16
	v_dual_sub_f32 v13, v17, v28 :: v_dual_sub_f32 v16, v32, v34
	v_add_f32_e32 v28, v102, v182
	v_add_f32_e32 v32, v100, v180
	v_dual_add_f32 v3, v25, v24 :: v_dual_fmac_f32 v30, 0x3ee1c552, v19
	v_sub_f32_e32 v19, v35, v33
	v_add_f32_e32 v17, v33, v35
	v_add_f32_e32 v29, v103, v183
	v_dual_add_f32 v33, v101, v181 :: v_dual_add_f32 v36, v26, v174
	v_dual_add_f32 v38, v32, v28 :: v_dual_sub_f32 v25, v3, v30
	v_add_f32_e32 v3, v30, v3
	v_sub_f32_e32 v30, v102, v182
	v_sub_f32_e32 v34, v100, v180
	v_dual_sub_f32 v26, v174, v26 :: v_dual_add_f32 v39, v33, v29
	v_sub_f32_e32 v40, v32, v28
	v_sub_f32_e32 v28, v28, v36
	v_sub_f32_e32 v32, v36, v32
	v_add_f32_e32 v36, v36, v38
	v_add_f32_e32 v24, v31, v2
	v_sub_f32_e32 v2, v2, v31
	v_sub_f32_e32 v31, v103, v183
	;; [unrolled: 1-line block ×5, first 2 shown]
	v_dual_sub_f32 v33, v37, v33 :: v_dual_add_f32 v42, v26, v34
	v_sub_f32_e32 v44, v26, v34
	v_dual_sub_f32 v46, v34, v30 :: v_dual_add_f32 v37, v37, v39
	v_dual_add_f32 v34, v36, v14 :: v_dual_add_f32 v43, v27, v35
	v_sub_f32_e32 v45, v27, v35
	v_sub_f32_e32 v47, v35, v31
	s_delay_alu instid0(VALU_DEP_4) | instskip(NEXT) | instid1(VALU_DEP_4)
	v_dual_add_f32 v35, v37, v15 :: v_dual_mul_f32 v38, 0xbf08b237, v44
	v_mov_b32_e32 v44, v34
	v_sub_f32_e32 v26, v30, v26
	v_add_f32_e32 v30, v42, v30
	v_dual_mul_f32 v14, 0x3f4a47b2, v28 :: v_dual_mul_f32 v15, 0x3f4a47b2, v29
	v_dual_mul_f32 v28, 0x3d64c772, v32 :: v_dual_mul_f32 v29, 0x3d64c772, v33
	v_mul_f32_e32 v42, 0xbf5ff5aa, v46
	v_fmac_f32_e32 v44, 0xbf955555, v36
	v_mov_b32_e32 v36, v35
	v_sub_f32_e32 v27, v31, v27
	v_add_f32_e32 v31, v43, v31
	v_mul_f32_e32 v39, 0xbf08b237, v45
	v_mul_f32_e32 v43, 0xbf5ff5aa, v47
	v_fmac_f32_e32 v36, 0xbf955555, v37
	v_dual_fmamk_f32 v32, v32, 0x3d64c772, v14 :: v_dual_fmamk_f32 v33, v33, 0x3d64c772, v15
	v_fma_f32 v28, 0x3f3bfb3b, v40, -v28
	v_fma_f32 v29, 0x3f3bfb3b, v41, -v29
	;; [unrolled: 1-line block ×4, first 2 shown]
	v_fmamk_f32 v40, v26, 0x3eae86e6, v38
	v_fma_f32 v38, 0x3f5ff5aa, v46, -v38
	v_fmac_f32_e32 v42, 0xbeae86e6, v26
	v_fmamk_f32 v41, v27, 0x3eae86e6, v39
	v_fma_f32 v39, 0x3f5ff5aa, v47, -v39
	v_fmac_f32_e32 v43, 0xbeae86e6, v27
	v_add_f32_e32 v27, v29, v36
	v_dual_add_f32 v15, v15, v36 :: v_dual_fmac_f32 v38, 0x3ee1c552, v30
	v_fmac_f32_e32 v42, 0x3ee1c552, v30
	v_add_f32_e32 v46, v33, v36
	v_add_f32_e32 v26, v28, v44
	;; [unrolled: 1-line block ×3, first 2 shown]
	v_dual_fmac_f32 v40, 0x3ee1c552, v30 :: v_dual_fmac_f32 v41, 0x3ee1c552, v31
	v_fmac_f32_e32 v39, 0x3ee1c552, v31
	v_fmac_f32_e32 v43, 0x3ee1c552, v31
	v_sub_f32_e32 v31, v15, v42
	v_add_f32_e32 v33, v38, v27
	v_sub_f32_e32 v27, v27, v38
	v_add_f32_e32 v29, v42, v15
	v_add_f32_e32 v38, v166, v172
	v_dual_add_f32 v42, v162, v170 :: v_dual_add_f32 v45, v32, v44
	v_dual_sub_f32 v37, v46, v40 :: v_dual_add_f32 v30, v43, v14
	v_sub_f32_e32 v32, v26, v39
	v_add_f32_e32 v26, v39, v26
	v_dual_sub_f32 v28, v14, v43 :: v_dual_add_f32 v15, v40, v46
	v_add_f32_e32 v39, v167, v173
	v_dual_add_f32 v43, v163, v171 :: v_dual_add_f32 v46, v164, v168
	v_add_f32_e32 v50, v42, v38
	v_add_f32_e32 v36, v41, v45
	v_dual_sub_f32 v14, v45, v41 :: v_dual_sub_f32 v45, v163, v171
	v_add_f32_e32 v47, v165, v169
	s_delay_alu instid0(VALU_DEP_4)
	v_dual_add_f32 v51, v43, v39 :: v_dual_add_f32 v50, v46, v50
	v_sub_f32_e32 v44, v162, v170
	v_sub_f32_e32 v52, v42, v38
	v_sub_f32_e32 v38, v38, v46
	v_dual_sub_f32 v42, v46, v42 :: v_dual_add_f32 v55, v49, v45
	v_dual_fmac_f32 v144, v67, v150 :: v_dual_mul_f32 v67, v58, v193
	v_dual_add_f32 v51, v47, v51 :: v_dual_add_f32 v46, v50, v8
	v_dual_sub_f32 v40, v166, v172 :: v_dual_sub_f32 v41, v167, v173
	s_delay_alu instid0(VALU_DEP_3)
	v_fmac_f32_e32 v67, v59, v192
	v_sub_f32_e32 v53, v43, v39
	v_sub_f32_e32 v39, v39, v47
	v_dual_sub_f32 v43, v47, v43 :: v_dual_add_f32 v54, v48, v44
	v_dual_sub_f32 v58, v48, v44 :: v_dual_sub_f32 v59, v49, v45
	v_dual_add_f32 v47, v51, v9 :: v_dual_mov_b32 v68, v46
	v_dual_sub_f32 v48, v40, v48 :: v_dual_sub_f32 v49, v41, v49
	v_dual_sub_f32 v44, v44, v40 :: v_dual_sub_f32 v45, v45, v41
	v_dual_add_f32 v40, v54, v40 :: v_dual_add_f32 v41, v55, v41
	v_dual_mul_f32 v8, 0x3f4a47b2, v38 :: v_dual_mul_f32 v9, 0x3f4a47b2, v39
	v_dual_mul_f32 v38, 0x3d64c772, v42 :: v_dual_mul_f32 v39, 0x3d64c772, v43
	;; [unrolled: 1-line block ×3, first 2 shown]
	v_fmac_f32_e32 v68, 0xbf955555, v50
	v_mov_b32_e32 v50, v47
	v_dual_mul_f32 v58, 0xbf5ff5aa, v44 :: v_dual_mul_f32 v59, 0xbf5ff5aa, v45
	v_fmamk_f32 v43, v43, 0x3d64c772, v9
	v_fma_f32 v38, 0x3f3bfb3b, v52, -v38
	s_delay_alu instid0(VALU_DEP_4)
	v_fmac_f32_e32 v50, 0xbf955555, v51
	v_fma_f32 v39, 0x3f3bfb3b, v53, -v39
	v_fma_f32 v9, 0xbf3bfb3b, v53, -v9
	v_fmamk_f32 v51, v48, 0x3eae86e6, v54
	v_fma_f32 v53, 0x3f5ff5aa, v44, -v54
	v_fma_f32 v54, 0x3f5ff5aa, v45, -v55
	v_fmamk_f32 v42, v42, 0x3d64c772, v8
	v_fma_f32 v8, 0xbf3bfb3b, v52, -v8
	v_fmamk_f32 v52, v49, 0x3eae86e6, v55
	v_dual_fmac_f32 v58, 0xbeae86e6, v48 :: v_dual_fmac_f32 v59, 0xbeae86e6, v49
	v_add_f32_e32 v38, v38, v68
	v_dual_fmac_f32 v54, 0x3ee1c552, v41 :: v_dual_add_f32 v55, v42, v68
	v_add_f32_e32 v69, v43, v50
	v_dual_add_f32 v39, v39, v50 :: v_dual_add_f32 v8, v8, v68
	v_add_f32_e32 v9, v9, v50
	v_dual_fmac_f32 v51, 0x3ee1c552, v40 :: v_dual_fmac_f32 v52, 0x3ee1c552, v41
	v_dual_fmac_f32 v58, 0x3ee1c552, v40 :: v_dual_fmac_f32 v59, 0x3ee1c552, v41
	v_sub_f32_e32 v44, v38, v54
	v_add_f32_e32 v38, v54, v38
	v_add_f32_e32 v50, v137, v160
	v_dual_add_f32 v54, v60, v145 :: v_dual_fmac_f32 v53, 0x3ee1c552, v40
	v_add_f32_e32 v48, v52, v55
	v_dual_sub_f32 v49, v69, v51 :: v_dual_add_f32 v42, v59, v8
	v_dual_sub_f32 v43, v9, v58 :: v_dual_sub_f32 v40, v8, v59
	v_dual_add_f32 v41, v58, v9 :: v_dual_sub_f32 v8, v55, v52
	v_add_f32_e32 v9, v51, v69
	v_add_f32_e32 v51, v138, v161
	v_dual_add_f32 v55, v61, v147 :: v_dual_sub_f32 v58, v60, v145
	v_add_f32_e32 v60, v56, v139
	v_add_f32_e32 v68, v54, v50
	v_sub_f32_e32 v52, v137, v160
	v_sub_f32_e32 v59, v61, v147
	v_add_f32_e32 v61, v57, v144
	v_sub_f32_e32 v56, v139, v56
	v_dual_add_f32 v69, v55, v51 :: v_dual_sub_f32 v100, v54, v50
	v_sub_f32_e32 v50, v50, v60
	v_sub_f32_e32 v54, v60, v54
	v_dual_add_f32 v60, v60, v68 :: v_dual_add_f32 v45, v53, v39
	v_sub_f32_e32 v39, v39, v53
	v_sub_f32_e32 v53, v138, v161
	;; [unrolled: 1-line block ×5, first 2 shown]
	v_dual_sub_f32 v55, v61, v55 :: v_dual_add_f32 v102, v56, v58
	v_sub_f32_e32 v108, v56, v58
	v_dual_sub_f32 v110, v58, v52 :: v_dual_add_f32 v61, v61, v69
	v_dual_add_f32 v58, v60, v10 :: v_dual_add_f32 v103, v57, v59
	v_sub_f32_e32 v109, v57, v59
	v_sub_f32_e32 v111, v59, v53
	s_delay_alu instid0(VALU_DEP_4) | instskip(NEXT) | instid1(VALU_DEP_4)
	v_dual_add_f32 v59, v61, v11 :: v_dual_mul_f32 v68, 0xbf08b237, v108
	v_mov_b32_e32 v108, v58
	v_sub_f32_e32 v56, v52, v56
	v_dual_mul_f32 v10, 0x3f4a47b2, v50 :: v_dual_mul_f32 v11, 0x3f4a47b2, v51
	v_dual_mul_f32 v50, 0x3d64c772, v54 :: v_dual_mul_f32 v51, 0x3d64c772, v55
	s_delay_alu instid0(VALU_DEP_4) | instskip(SKIP_3) | instid1(VALU_DEP_3)
	v_fmac_f32_e32 v108, 0xbf955555, v60
	v_dual_mov_b32 v60, v59 :: v_dual_sub_f32 v57, v53, v57
	v_dual_add_f32 v52, v102, v52 :: v_dual_mul_f32 v69, 0xbf08b237, v109
	v_mul_f32_e32 v102, 0xbf5ff5aa, v110
	v_fmac_f32_e32 v60, 0xbf955555, v61
	v_fmamk_f32 v54, v54, 0x3d64c772, v10
	v_fma_f32 v50, 0x3f3bfb3b, v100, -v50
	v_fma_f32 v51, 0x3f3bfb3b, v101, -v51
	;; [unrolled: 1-line block ×3, first 2 shown]
	v_fmamk_f32 v100, v56, 0x3eae86e6, v68
	v_fma_f32 v68, 0x3f5ff5aa, v110, -v68
	v_add_f32_e32 v53, v103, v53
	v_mul_f32_e32 v103, 0xbf5ff5aa, v111
	v_fmamk_f32 v55, v55, 0x3d64c772, v11
	v_fma_f32 v11, 0xbf3bfb3b, v101, -v11
	v_fmamk_f32 v101, v57, 0x3eae86e6, v69
	v_fma_f32 v69, 0x3f5ff5aa, v111, -v69
	v_fmac_f32_e32 v102, 0xbeae86e6, v56
	v_add_f32_e32 v51, v51, v60
	v_fmac_f32_e32 v68, 0x3ee1c552, v52
	v_dual_fmac_f32 v103, 0xbeae86e6, v57 :: v_dual_add_f32 v110, v55, v60
	v_add_f32_e32 v50, v50, v108
	v_add_f32_e32 v11, v11, v60
	v_dual_fmac_f32 v100, 0x3ee1c552, v52 :: v_dual_fmac_f32 v69, 0x3ee1c552, v53
	v_dual_fmac_f32 v102, 0x3ee1c552, v52 :: v_dual_add_f32 v57, v68, v51
	v_dual_sub_f32 v51, v51, v68 :: v_dual_add_f32 v68, v66, v99
	v_sub_f32_e32 v66, v66, v99
	v_add_f32_e32 v99, v62, v72
	v_add_f32_e32 v109, v54, v108
	v_dual_add_f32 v10, v10, v108 :: v_dual_fmac_f32 v101, 0x3ee1c552, v53
	v_fmac_f32_e32 v103, 0x3ee1c552, v53
	v_sub_f32_e32 v61, v110, v100
	v_dual_sub_f32 v55, v11, v102 :: v_dual_sub_f32 v56, v50, v69
	v_dual_add_f32 v50, v69, v50 :: v_dual_add_f32 v53, v102, v11
	v_add_f32_e32 v11, v100, v110
	v_add_f32_e32 v69, v67, v136
	;; [unrolled: 1-line block ×3, first 2 shown]
	v_sub_f32_e32 v62, v62, v72
	v_add_f32_e32 v72, v64, v70
	v_sub_f32_e32 v64, v70, v64
	v_add_f32_e32 v70, v99, v68
	v_add_f32_e32 v60, v101, v109
	v_add_f32_e32 v54, v103, v10
	v_sub_f32_e32 v52, v10, v103
	v_sub_f32_e32 v10, v109, v101
	;; [unrolled: 1-line block ×3, first 2 shown]
	v_add_f32_e32 v73, v65, v71
	v_sub_f32_e32 v65, v71, v65
	v_add_f32_e32 v71, v100, v69
	v_sub_f32_e32 v101, v99, v68
	v_sub_f32_e32 v103, v68, v72
	v_add_f32_e32 v68, v64, v62
	v_dual_add_f32 v70, v72, v70 :: v_dual_sub_f32 v67, v67, v136
	v_sub_f32_e32 v102, v100, v69
	v_sub_f32_e32 v108, v69, v73
	v_add_f32_e32 v69, v65, v63
	v_dual_sub_f32 v109, v64, v62 :: v_dual_sub_f32 v64, v66, v64
	v_dual_sub_f32 v62, v62, v66 :: v_dual_add_f32 v71, v73, v71
	v_add_f32_e32 v66, v68, v66
	v_add_f32_e32 v68, v70, v4
	v_dual_sub_f32 v110, v65, v63 :: v_dual_sub_f32 v65, v67, v65
	v_sub_f32_e32 v63, v63, v67
	v_add_f32_e32 v67, v69, v67
	v_add_f32_e32 v69, v71, v5
	v_mov_b32_e32 v111, v68
	v_dual_sub_f32 v99, v72, v99 :: v_dual_sub_f32 v100, v73, v100
	v_dual_mul_f32 v4, 0x3f4a47b2, v103 :: v_dual_mul_f32 v5, 0x3f4a47b2, v108
	v_mul_f32_e32 v103, 0xbf08b237, v109
	v_mul_f32_e32 v109, 0xbf5ff5aa, v62
	v_dual_fmac_f32 v111, 0xbf955555, v70 :: v_dual_mov_b32 v70, v69
	v_dual_mul_f32 v72, 0x3d64c772, v99 :: v_dual_mul_f32 v73, 0x3d64c772, v100
	v_mul_f32_e32 v108, 0xbf08b237, v110
	v_mul_f32_e32 v110, 0xbf5ff5aa, v63
	s_delay_alu instid0(VALU_DEP_4)
	v_fmac_f32_e32 v70, 0xbf955555, v71
	v_fmamk_f32 v71, v99, 0x3d64c772, v4
	v_fmamk_f32 v99, v100, 0x3d64c772, v5
	v_fma_f32 v5, 0xbf3bfb3b, v102, -v5
	v_fmamk_f32 v100, v64, 0x3eae86e6, v103
	v_fmac_f32_e32 v109, 0xbeae86e6, v64
	v_fma_f32 v72, 0x3f3bfb3b, v101, -v72
	v_fma_f32 v73, 0x3f3bfb3b, v102, -v73
	;; [unrolled: 1-line block ×3, first 2 shown]
	v_fmamk_f32 v101, v65, 0x3eae86e6, v108
	v_fma_f32 v102, 0x3f5ff5aa, v62, -v103
	v_fma_f32 v62, 0x3f5ff5aa, v63, -v108
	v_dual_fmac_f32 v110, 0xbeae86e6, v65 :: v_dual_add_f32 v99, v99, v70
	v_add_f32_e32 v5, v5, v70
	v_fmac_f32_e32 v100, 0x3ee1c552, v66
	v_fmac_f32_e32 v109, 0x3ee1c552, v66
	v_add_f32_e32 v103, v71, v111
	v_fmac_f32_e32 v101, 0x3ee1c552, v67
	v_fmac_f32_e32 v62, 0x3ee1c552, v67
	v_dual_fmac_f32 v110, 0x3ee1c552, v67 :: v_dual_sub_f32 v71, v99, v100
	v_sub_f32_e32 v67, v5, v109
	v_add_f32_e32 v65, v109, v5
	v_add_f32_e32 v5, v100, v99
	;; [unrolled: 1-line block ×3, first 2 shown]
	v_sub_f32_e32 v74, v74, v92
	v_add_f32_e32 v92, v82, v90
	v_add_f32_e32 v100, v75, v93
	v_sub_f32_e32 v75, v75, v93
	v_dual_add_f32 v93, v83, v91 :: v_dual_sub_f32 v82, v82, v90
	v_add_f32_e32 v90, v80, v88
	v_sub_f32_e32 v80, v88, v80
	v_add_f32_e32 v88, v92, v99
	v_sub_f32_e32 v83, v83, v91
	;; [unrolled: 2-line block ×3, first 2 shown]
	v_add_f32_e32 v89, v93, v100
	v_dual_add_f32 v88, v90, v88 :: v_dual_add_f32 v63, v72, v111
	v_add_f32_e32 v64, v73, v70
	v_add_f32_e32 v4, v4, v111
	s_delay_alu instid0(VALU_DEP_4) | instskip(NEXT) | instid1(VALU_DEP_4)
	v_dual_fmac_f32 v102, 0x3ee1c552, v66 :: v_dual_add_f32 v89, v91, v89
	v_add_f32_e32 v6, v88, v6
	v_add_f32_e32 v70, v101, v103
	s_delay_alu instid0(VALU_DEP_4) | instskip(NEXT) | instid1(VALU_DEP_4)
	v_add_f32_e32 v66, v110, v4
	v_dual_sub_f32 v72, v63, v62 :: v_dual_add_f32 v73, v102, v64
	v_dual_add_f32 v62, v62, v63 :: v_dual_sub_f32 v63, v64, v102
	v_sub_f32_e32 v64, v4, v110
	v_dual_sub_f32 v4, v103, v101 :: v_dual_sub_f32 v101, v92, v99
	v_dual_sub_f32 v102, v93, v100 :: v_dual_sub_f32 v99, v99, v90
	v_sub_f32_e32 v100, v100, v91
	v_dual_sub_f32 v92, v90, v92 :: v_dual_sub_f32 v93, v91, v93
	v_dual_add_f32 v103, v80, v82 :: v_dual_add_f32 v108, v81, v83
	v_dual_sub_f32 v109, v80, v82 :: v_dual_sub_f32 v110, v81, v83
	v_add_f32_e32 v7, v89, v7
	v_mov_b32_e32 v111, v6
	v_dual_sub_f32 v80, v74, v80 :: v_dual_sub_f32 v81, v75, v81
	v_dual_sub_f32 v82, v82, v74 :: v_dual_sub_f32 v83, v83, v75
	v_dual_add_f32 v74, v103, v74 :: v_dual_add_f32 v75, v108, v75
	v_dual_mul_f32 v90, 0x3f4a47b2, v99 :: v_dual_mul_f32 v91, 0x3f4a47b2, v100
	v_dual_mul_f32 v99, 0x3d64c772, v92 :: v_dual_mul_f32 v100, 0x3d64c772, v93
	;; [unrolled: 1-line block ×3, first 2 shown]
	v_dual_fmac_f32 v111, 0xbf955555, v88 :: v_dual_mov_b32 v88, v7
	v_dual_mul_f32 v109, 0xbf5ff5aa, v82 :: v_dual_mul_f32 v110, 0xbf5ff5aa, v83
	s_delay_alu instid0(VALU_DEP_2)
	v_fmac_f32_e32 v88, 0xbf955555, v89
	v_dual_fmamk_f32 v89, v92, 0x3d64c772, v90 :: v_dual_fmamk_f32 v92, v93, 0x3d64c772, v91
	v_fma_f32 v93, 0x3f3bfb3b, v101, -v99
	v_fma_f32 v99, 0x3f3bfb3b, v102, -v100
	;; [unrolled: 1-line block ×4, first 2 shown]
	v_fmamk_f32 v101, v81, 0x3eae86e6, v108
	v_fma_f32 v102, 0x3f5ff5aa, v82, -v103
	v_fmamk_f32 v100, v80, 0x3eae86e6, v103
	v_fma_f32 v103, 0x3f5ff5aa, v83, -v108
	v_dual_fmac_f32 v109, 0xbeae86e6, v80 :: v_dual_fmac_f32 v110, 0xbeae86e6, v81
	v_dual_add_f32 v80, v89, v111 :: v_dual_add_f32 v99, v99, v88
	v_dual_fmac_f32 v101, 0x3ee1c552, v75 :: v_dual_fmac_f32 v102, 0x3ee1c552, v74
	v_add_f32_e32 v81, v92, v88
	v_add_f32_e32 v89, v93, v111
	v_dual_add_f32 v108, v90, v111 :: v_dual_add_f32 v111, v91, v88
	v_dual_fmac_f32 v100, 0x3ee1c552, v74 :: v_dual_fmac_f32 v103, 0x3ee1c552, v75
	v_fmac_f32_e32 v110, 0x3ee1c552, v75
	v_dual_add_f32 v92, v101, v80 :: v_dual_add_f32 v91, v102, v99
	v_dual_sub_f32 v75, v99, v102 :: v_dual_sub_f32 v80, v80, v101
	v_add_f32_e32 v99, v76, v104
	v_add_f32_e32 v101, v78, v96
	v_sub_f32_e32 v93, v81, v100
	v_add_f32_e32 v81, v100, v81
	v_add_f32_e32 v100, v77, v105
	;; [unrolled: 1-line block ×3, first 2 shown]
	v_sub_f32_e32 v78, v78, v96
	v_add_f32_e32 v96, v84, v94
	v_sub_f32_e32 v84, v94, v84
	v_dual_add_f32 v94, v101, v99 :: v_dual_sub_f32 v79, v79, v97
	v_add_f32_e32 v97, v85, v95
	v_sub_f32_e32 v85, v95, v85
	s_delay_alu instid0(VALU_DEP_3)
	v_dual_add_f32 v95, v102, v100 :: v_dual_add_f32 v94, v96, v94
	v_dual_fmac_f32 v109, 0x3ee1c552, v74 :: v_dual_add_f32 v82, v110, v108
	v_sub_f32_e32 v90, v89, v103
	v_add_f32_e32 v74, v103, v89
	v_sub_f32_e32 v88, v108, v110
	v_dual_sub_f32 v76, v76, v104 :: v_dual_sub_f32 v77, v77, v105
	v_sub_f32_e32 v103, v101, v99
	v_sub_f32_e32 v99, v99, v96
	v_dual_sub_f32 v101, v96, v101 :: v_dual_add_f32 v108, v85, v79
	v_sub_f32_e32 v110, v85, v79
	v_dual_add_f32 v95, v97, v95 :: v_dual_add_f32 v0, v94, v0
	v_sub_f32_e32 v83, v111, v109
	v_dual_add_f32 v89, v109, v111 :: v_dual_sub_f32 v104, v102, v100
	v_sub_f32_e32 v100, v100, v97
	v_add_f32_e32 v105, v84, v78
	v_sub_f32_e32 v109, v84, v78
	v_dual_sub_f32 v85, v77, v85 :: v_dual_sub_f32 v78, v78, v76
	v_sub_f32_e32 v79, v79, v77
	v_add_f32_e32 v77, v108, v77
	v_dual_add_f32 v1, v95, v1 :: v_dual_mul_f32 v96, 0x3f4a47b2, v99
	v_mul_f32_e32 v99, 0x3d64c772, v101
	v_dual_mul_f32 v108, 0xbf08b237, v110 :: v_dual_mov_b32 v111, v0
	v_sub_f32_e32 v102, v97, v102
	v_sub_f32_e32 v84, v76, v84
	v_add_f32_e32 v76, v105, v76
	v_mul_f32_e32 v97, 0x3f4a47b2, v100
	v_mul_f32_e32 v105, 0xbf08b237, v109
	v_dual_mul_f32 v109, 0xbf5ff5aa, v78 :: v_dual_mul_f32 v110, 0xbf5ff5aa, v79
	v_dual_fmac_f32 v111, 0xbf955555, v94 :: v_dual_mov_b32 v94, v1
	v_fma_f32 v99, 0x3f3bfb3b, v103, -v99
	v_fma_f32 v79, 0x3f5ff5aa, v79, -v108
	v_mul_f32_e32 v100, 0x3d64c772, v102
	v_fma_f32 v78, 0x3f5ff5aa, v78, -v105
	v_fmac_f32_e32 v94, 0xbf955555, v95
	v_fmamk_f32 v95, v101, 0x3d64c772, v96
	v_fmamk_f32 v101, v102, 0x3d64c772, v97
	;; [unrolled: 1-line block ×3, first 2 shown]
	v_fmac_f32_e32 v109, 0xbeae86e6, v84
	v_add_f32_e32 v99, v99, v111
	v_dual_fmac_f32 v79, 0x3ee1c552, v77 :: v_dual_fmac_f32 v78, 0x3ee1c552, v76
	s_delay_alu instid0(VALU_DEP_4) | instskip(NEXT) | instid1(VALU_DEP_4)
	v_fmac_f32_e32 v102, 0x3ee1c552, v76
	v_fmac_f32_e32 v109, 0x3ee1c552, v76
	v_fma_f32 v100, 0x3f3bfb3b, v104, -v100
	s_delay_alu instid0(VALU_DEP_4) | instskip(SKIP_2) | instid1(VALU_DEP_4)
	v_sub_f32_e32 v84, v99, v79
	v_dual_add_f32 v76, v79, v99 :: v_dual_and_b32 v99, 0xffff, v134
	v_fma_f32 v96, 0xbf3bfb3b, v103, -v96
	v_dual_add_f32 v100, v100, v94 :: v_dual_fmamk_f32 v103, v85, 0x3eae86e6, v108
	v_fmac_f32_e32 v110, 0xbeae86e6, v85
	s_delay_alu instid0(VALU_DEP_4) | instskip(SKIP_1) | instid1(VALU_DEP_4)
	v_mul_u32_u24_e32 v99, 49, v99
	v_fma_f32 v97, 0xbf3bfb3b, v104, -v97
	v_dual_add_f32 v85, v78, v100 :: v_dual_add_f32 v108, v95, v111
	v_add_f32_e32 v101, v101, v94
	s_delay_alu instid0(VALU_DEP_4)
	v_add_lshl_u32 v99, v99, v135, 3
	v_dual_fmac_f32 v103, 0x3ee1c552, v77 :: v_dual_add_f32 v96, v96, v111
	v_dual_add_f32 v97, v97, v94 :: v_dual_fmac_f32 v110, 0x3ee1c552, v77
	scratch_store_b32 off, v99, off offset:724 ; 4-byte Folded Spill
	ds_store_2addr_b64 v99, v[22:23], v[24:25] offset1:7
	ds_store_2addr_b64 v99, v[18:19], v[20:21] offset0:14 offset1:21
	ds_store_2addr_b64 v99, v[12:13], v[16:17] offset0:28 offset1:35
	ds_store_b64 v99, v[2:3] offset:336
	v_and_b32_e32 v2, 0xffff, v132
	v_dual_add_f32 v104, v103, v108 :: v_dual_sub_f32 v105, v101, v102
	v_dual_add_f32 v94, v110, v96 :: v_dual_sub_f32 v95, v97, v109
	s_delay_alu instid0(VALU_DEP_3) | instskip(SKIP_3) | instid1(VALU_DEP_4)
	v_mul_u32_u24_e32 v2, 49, v2
	v_sub_f32_e32 v77, v100, v78
	v_dual_sub_f32 v96, v96, v110 :: v_dual_add_f32 v97, v109, v97
	v_sub_f32_e32 v78, v108, v103
	v_add_lshl_u32 v2, v2, v133, 3
	v_add_f32_e32 v79, v102, v101
	scratch_store_b32 off, v2, off offset:728 ; 4-byte Folded Spill
	ds_store_2addr_b64 v2, v[34:35], v[36:37] offset1:7
	ds_store_2addr_b64 v2, v[30:31], v[32:33] offset0:14 offset1:21
	ds_store_2addr_b64 v2, v[26:27], v[28:29] offset0:28 offset1:35
	ds_store_b64 v2, v[14:15] offset:336
	v_and_b32_e32 v2, 0xffff, v130
	s_delay_alu instid0(VALU_DEP_1) | instskip(NEXT) | instid1(VALU_DEP_1)
	v_mul_u32_u24_e32 v2, 49, v2
	v_add_lshl_u32 v2, v2, v131, 3
	scratch_store_b32 off, v2, off offset:748 ; 4-byte Folded Spill
	ds_store_2addr_b64 v2, v[46:47], v[48:49] offset1:7
	ds_store_2addr_b64 v2, v[42:43], v[44:45] offset0:14 offset1:21
	ds_store_2addr_b64 v2, v[38:39], v[40:41] offset0:28 offset1:35
	ds_store_b64 v2, v[8:9] offset:336
	v_and_b32_e32 v2, 0xffff, v126
	s_delay_alu instid0(VALU_DEP_1) | instskip(NEXT) | instid1(VALU_DEP_1)
	v_mul_u32_u24_e32 v2, 49, v2
	v_add_lshl_u32 v2, v2, v114, 3
	;; [unrolled: 9-line block ×3, first 2 shown]
	scratch_store_b32 off, v2, off offset:760 ; 4-byte Folded Spill
	ds_store_2addr_b64 v2, v[68:69], v[70:71] offset1:7
	ds_store_2addr_b64 v2, v[66:67], v[72:73] offset0:14 offset1:21
	ds_store_2addr_b64 v2, v[62:63], v[64:65] offset0:28 offset1:35
	ds_store_b64 v2, v[4:5] offset:336
	v_mad_u16 v2, v128, 49, v129
	v_mul_lo_u16 v63, 0x4f, v87
	s_delay_alu instid0(VALU_DEP_2) | instskip(NEXT) | instid1(VALU_DEP_2)
	v_and_b32_e32 v2, 0xffff, v2
	v_lshrrev_b16 v63, 8, v63
	s_delay_alu instid0(VALU_DEP_2) | instskip(NEXT) | instid1(VALU_DEP_2)
	v_lshlrev_b32_e32 v2, 3, v2
	v_sub_nc_u16 v68, v106, v63
	ds_store_2addr_b64 v2, v[6:7], v[92:93] offset1:7
	scratch_store_b32 off, v2, off offset:656 ; 4-byte Folded Spill
	ds_store_2addr_b64 v2, v[82:83], v[90:91] offset0:14 offset1:21
	ds_store_2addr_b64 v2, v[74:75], v[88:89] offset0:28 offset1:35
	ds_store_b64 v2, v[80:81] offset:336
	v_mad_u16 v2, v118, 49, v119
	v_mad_co_u64_u32 v[88:89], null, v116, 48, s[6:7]
	v_lshrrev_b16 v68, 1, v68
	s_delay_alu instid0(VALU_DEP_3) | instskip(NEXT) | instid1(VALU_DEP_2)
	v_and_b32_e32 v2, 0xffff, v2
	v_and_b32_e32 v68, 0x7f, v68
	s_delay_alu instid0(VALU_DEP_2) | instskip(NEXT) | instid1(VALU_DEP_2)
	v_lshlrev_b32_e32 v2, 3, v2
	v_add_nc_u16 v63, v68, v63
	ds_store_2addr_b64 v2, v[0:1], v[104:105] offset1:7
	v_add_nc_u32_e32 v0, 0x1c00, v98
	scratch_store_b32 off, v2, off offset:764 ; 4-byte Folded Spill
	ds_store_2addr_b64 v2, v[94:95], v[84:85] offset0:14 offset1:21
	ds_store_2addr_b64 v2, v[76:77], v[96:97] offset0:28 offset1:35
	ds_store_b64 v2, v[78:79] offset:336
	global_wb scope:SCOPE_SE
	s_wait_storecnt_dscnt 0x0
	s_barrier_signal -1
	s_barrier_wait -1
	global_inv scope:SCOPE_SE
	ds_load_2addr_b64 v[12:15], v98 offset1:49
	ds_load_2addr_b64 v[64:67], v117 offset0:38 offset1:87
	ds_load_2addr_b64 v[2:5], v197 offset0:174 offset1:223
	;; [unrolled: 1-line block ×23, first 2 shown]
	ds_load_b64 v[60:61], v98 offset:18816
	s_clause 0x2
	global_load_b128 v[122:125], v[88:89], off offset:368
	global_load_b128 v[116:119], v[88:89], off offset:352
	;; [unrolled: 1-line block ×3, first 2 shown]
	v_lshrrev_b16 v63, 5, v63
	s_delay_alu instid0(VALU_DEP_1) | instskip(NEXT) | instid1(VALU_DEP_1)
	v_mul_lo_u16 v63, v63, 49
	v_sub_nc_u16 v63, v106, v63
	s_delay_alu instid0(VALU_DEP_1) | instskip(NEXT) | instid1(VALU_DEP_1)
	v_and_b32_e32 v63, 0xff, v63
	v_mad_co_u64_u32 v[68:69], null, v63, 48, s[6:7]
	scratch_store_b32 off, v63, off offset:412 ; 4-byte Folded Spill
	s_wait_loadcnt_dscnt 0x10f
	v_dual_mul_f32 v110, v164, v123 :: v_dual_mul_f32 v109, v26, v117
	s_wait_loadcnt 0x0
	v_dual_mul_f32 v0, v67, v73 :: v_dual_mul_f32 v7, v4, v75
	s_delay_alu instid0(VALU_DEP_2) | instskip(SKIP_1) | instid1(VALU_DEP_3)
	v_dual_mul_f32 v147, v90, v119 :: v_dual_fmac_f32 v110, v165, v122
	v_mul_f32_e32 v1, v18, v123
	v_fma_f32 v62, v66, v72, -v0
	s_delay_alu instid0(VALU_DEP_4) | instskip(NEXT) | instid1(VALU_DEP_4)
	v_dual_mul_f32 v0, v3, v75 :: v_dual_fmac_f32 v7, v5, v74
	v_dual_mul_f32 v66, v66, v73 :: v_dual_fmac_f32 v147, v91, v118
	v_fmac_f32_e32 v109, v27, v116
	s_delay_alu instid0(VALU_DEP_3) | instskip(SKIP_4) | instid1(VALU_DEP_4)
	v_fma_f32 v76, v2, v74, -v0
	v_mul_f32_e32 v2, v2, v75
	v_mul_f32_e32 v0, v27, v117
	v_dual_fmac_f32 v66, v67, v72 :: v_dual_mul_f32 v27, v101, v73
	v_fmac_f32_e32 v1, v19, v122
	v_dual_fmac_f32 v2, v3, v74 :: v_dual_mul_f32 v3, v102, v73
	s_delay_alu instid0(VALU_DEP_4) | instskip(NEXT) | instid1(VALU_DEP_4)
	v_fma_f32 v108, v26, v116, -v0
	v_dual_mul_f32 v0, v91, v119 :: v_dual_fmac_f32 v27, v102, v72
	s_delay_alu instid0(VALU_DEP_3) | instskip(SKIP_1) | instid1(VALU_DEP_3)
	v_fma_f32 v78, v101, v72, -v3
	v_mul_f32_e32 v3, v5, v75
	v_fma_f32 v146, v90, v118, -v0
	v_dual_mul_f32 v0, v19, v123 :: v_dual_mul_f32 v5, v130, v117
	s_delay_alu instid0(VALU_DEP_3) | instskip(SKIP_1) | instid1(VALU_DEP_3)
	v_fma_f32 v26, v4, v74, -v3
	v_dual_mul_f32 v3, v131, v117 :: v_dual_mul_f32 v4, v92, v119
	v_fma_f32 v67, v18, v122, -v0
	s_delay_alu instid0(VALU_DEP_4) | instskip(SKIP_1) | instid1(VALU_DEP_4)
	v_fmac_f32_e32 v5, v131, v116
	v_mul_f32_e32 v0, v95, v125
	v_fma_f32 v113, v130, v116, -v3
	v_mul_f32_e32 v3, v93, v119
	v_fmac_f32_e32 v4, v93, v118
	s_delay_alu instid0(VALU_DEP_4) | instskip(SKIP_1) | instid1(VALU_DEP_4)
	v_fma_f32 v6, v94, v124, -v0
	v_mul_f32_e32 v0, v94, v125
	v_fma_f32 v18, v92, v118, -v3
	s_clause 0x2
	global_load_b128 v[90:93], v[68:69], off offset:368
	global_load_b128 v[128:131], v[68:69], off offset:352
	;; [unrolled: 1-line block ×3, first 2 shown]
	v_dual_mul_f32 v3, v165, v123 :: v_dual_fmac_f32 v0, v95, v124
	s_delay_alu instid0(VALU_DEP_1) | instskip(SKIP_1) | instid1(VALU_DEP_1)
	v_fma_f32 v19, v164, v122, -v3
	v_mul_f32_e32 v3, v97, v125
	v_fma_f32 v111, v96, v124, -v3
	v_mul_f32_e32 v3, v96, v125
	s_delay_alu instid0(VALU_DEP_1)
	v_fmac_f32_e32 v3, v97, v124
	s_wait_loadcnt 0x2
	v_mul_f32_e32 v253, v166, v91
	scratch_store_b128 off, v[90:93], off offset:908 ; 16-byte Folded Spill
	s_wait_loadcnt 0x0
	v_mul_f32_e32 v63, v104, v137
	s_wait_dscnt 0xb
	v_mul_f32_e32 v255, v80, v93
	v_mul_f32_e32 v101, v180, v139
	v_fmac_f32_e32 v253, v167, v90
	v_mul_f32_e32 v251, v188, v131
	v_fma_f32 v102, v103, v136, -v63
	v_mul_f32_e32 v63, v181, v139
	v_fmac_f32_e32 v255, v81, v92
	v_fmac_f32_e32 v101, v181, v138
	;; [unrolled: 1-line block ×3, first 2 shown]
	v_mul_f32_e32 v249, v132, v129
	v_fma_f32 v100, v180, v138, -v63
	v_mul_f32_e32 v63, v133, v129
	v_mul_f32_e32 v103, v103, v137
	s_delay_alu instid0(VALU_DEP_4) | instskip(NEXT) | instid1(VALU_DEP_3)
	v_fmac_f32_e32 v249, v133, v128
	v_fma_f32 v248, v132, v128, -v63
	v_mul_f32_e32 v63, v189, v131
	s_delay_alu instid0(VALU_DEP_4) | instskip(NEXT) | instid1(VALU_DEP_2)
	v_fmac_f32_e32 v103, v104, v136
	v_fma_f32 v250, v188, v130, -v63
	v_mul_f32_e32 v63, v167, v91
	s_delay_alu instid0(VALU_DEP_1) | instskip(SKIP_1) | instid1(VALU_DEP_1)
	v_fma_f32 v252, v166, v90, -v63
	v_mul_f32_e32 v63, v81, v93
	v_fma_f32 v254, v80, v92, -v63
	v_mul_lo_u16 v63, 0x4f, v86
	s_delay_alu instid0(VALU_DEP_1) | instskip(NEXT) | instid1(VALU_DEP_1)
	v_lshrrev_b16 v63, 8, v63
	v_sub_nc_u16 v68, v107, v63
	s_delay_alu instid0(VALU_DEP_1) | instskip(NEXT) | instid1(VALU_DEP_1)
	v_lshrrev_b16 v68, 1, v68
	v_and_b32_e32 v68, 0x7f, v68
	s_delay_alu instid0(VALU_DEP_1) | instskip(NEXT) | instid1(VALU_DEP_1)
	v_add_nc_u16 v63, v68, v63
	v_lshrrev_b16 v63, 5, v63
	s_delay_alu instid0(VALU_DEP_1) | instskip(NEXT) | instid1(VALU_DEP_1)
	v_mul_lo_u16 v63, v63, 49
	v_sub_nc_u16 v63, v107, v63
	s_delay_alu instid0(VALU_DEP_1) | instskip(NEXT) | instid1(VALU_DEP_1)
	v_and_b32_e32 v63, 0xff, v63
	v_mad_co_u64_u32 v[68:69], null, v63, 48, s[6:7]
	scratch_store_b32 off, v63, off offset:408 ; 4-byte Folded Spill
	s_clause 0x2
	global_load_b128 v[164:167], v[68:69], off offset:368
	global_load_b128 v[168:171], v[68:69], off offset:352
	;; [unrolled: 1-line block ×3, first 2 shown]
	s_wait_loadcnt_dscnt 0x208
	v_mul_f32_e32 v245, v48, v165
	s_wait_loadcnt 0x1
	v_mul_f32_e32 v243, v190, v171
	s_wait_loadcnt 0x0
	v_mul_f32_e32 v63, v57, v173
	v_dual_mul_f32 v81, v56, v173 :: v_dual_mul_f32 v242, v182, v175
	v_fmac_f32_e32 v245, v49, v164
	v_fmac_f32_e32 v243, v191, v170
	s_delay_alu instid0(VALU_DEP_4) | instskip(SKIP_3) | instid1(VALU_DEP_3)
	v_fma_f32 v80, v56, v172, -v63
	v_dual_mul_f32 v63, v49, v165 :: v_dual_mul_f32 v56, v183, v175
	v_dual_fmac_f32 v81, v57, v172 :: v_dual_fmac_f32 v242, v183, v174
	v_mul_f32_e32 v247, v82, v167
	v_fma_f32 v244, v48, v164, -v63
	v_mul_f32_e32 v48, v83, v167
	v_fma_f32 v57, v182, v174, -v56
	s_delay_alu instid0(VALU_DEP_4) | instskip(NEXT) | instid1(VALU_DEP_3)
	v_dual_mul_f32 v56, v53, v169 :: v_dual_fmac_f32 v247, v83, v166
	v_fma_f32 v246, v82, v166, -v48
	v_mul_lo_u16 v48, 0x4f, v115
	s_delay_alu instid0(VALU_DEP_3) | instskip(SKIP_1) | instid1(VALU_DEP_3)
	v_fma_f32 v56, v52, v168, -v56
	v_mul_f32_e32 v52, v52, v169
	v_lshrrev_b16 v48, 8, v48
	s_delay_alu instid0(VALU_DEP_2) | instskip(NEXT) | instid1(VALU_DEP_2)
	v_dual_fmac_f32 v52, v53, v168 :: v_dual_mul_f32 v53, v191, v171
	v_sub_nc_u16 v49, v112, v48
	s_delay_alu instid0(VALU_DEP_2) | instskip(NEXT) | instid1(VALU_DEP_2)
	v_fma_f32 v53, v190, v170, -v53
	v_lshrrev_b16 v49, 1, v49
	s_delay_alu instid0(VALU_DEP_1) | instskip(NEXT) | instid1(VALU_DEP_1)
	v_and_b32_e32 v49, 0x7f, v49
	v_add_nc_u16 v48, v49, v48
	s_delay_alu instid0(VALU_DEP_1) | instskip(NEXT) | instid1(VALU_DEP_1)
	v_lshrrev_b16 v48, 5, v48
	v_mul_lo_u16 v48, v48, 49
	s_delay_alu instid0(VALU_DEP_1) | instskip(NEXT) | instid1(VALU_DEP_1)
	v_sub_nc_u16 v48, v112, v48
	v_and_b32_e32 v48, 0xff, v48
	scratch_store_b32 off, v48, off offset:404 ; 4-byte Folded Spill
	v_mad_co_u64_u32 v[48:49], null, v48, 48, s[6:7]
	s_clause 0x2
	global_load_b128 v[180:183], v[48:49], off offset:368
	global_load_b128 v[188:191], v[48:49], off offset:352
	global_load_b128 v[196:199], v[48:49], off offset:336
	s_wait_loadcnt_dscnt 0x204
	v_mul_f32_e32 v241, v36, v183
	s_wait_loadcnt 0x0
	v_dual_mul_f32 v93, v40, v191 :: v_dual_mul_f32 v48, v59, v197
	v_mul_f32_e32 v63, v44, v199
	v_mul_f32_e32 v95, v50, v181
	v_fmac_f32_e32 v241, v37, v182
	v_mul_f32_e32 v83, v58, v197
	v_fma_f32 v82, v58, v196, -v48
	v_mul_f32_e32 v48, v45, v199
	v_fmac_f32_e32 v63, v45, v198
	v_fmac_f32_e32 v95, v51, v180
	v_mul_f32_e32 v91, v54, v189
	v_fmac_f32_e32 v83, v59, v196
	v_fma_f32 v84, v44, v198, -v48
	v_dual_mul_f32 v44, v55, v189 :: v_dual_fmac_f32 v93, v41, v190
	s_delay_alu instid0(VALU_DEP_4) | instskip(NEXT) | instid1(VALU_DEP_2)
	v_fmac_f32_e32 v91, v55, v188
	v_fma_f32 v90, v54, v188, -v44
	v_mul_f32_e32 v44, v41, v191
	s_delay_alu instid0(VALU_DEP_1) | instskip(SKIP_1) | instid1(VALU_DEP_1)
	v_fma_f32 v92, v40, v190, -v44
	v_mul_f32_e32 v40, v51, v181
	v_fma_f32 v94, v50, v180, -v40
	v_mul_f32_e32 v40, v37, v183
	s_delay_alu instid0(VALU_DEP_1) | instskip(SKIP_1) | instid1(VALU_DEP_1)
	v_fma_f32 v240, v36, v182, -v40
	v_mul_u32_u24_e32 v36, 0x4e5f, v201
	v_lshrrev_b32_e32 v36, 16, v36
	s_delay_alu instid0(VALU_DEP_1) | instskip(NEXT) | instid1(VALU_DEP_1)
	v_sub_nc_u16 v37, v200, v36
	v_lshrrev_b16 v37, 1, v37
	s_delay_alu instid0(VALU_DEP_1) | instskip(NEXT) | instid1(VALU_DEP_1)
	v_add_nc_u16 v36, v37, v36
	v_lshrrev_b16 v36, 5, v36
	s_delay_alu instid0(VALU_DEP_1) | instskip(NEXT) | instid1(VALU_DEP_1)
	v_mul_lo_u16 v36, v36, 49
	v_sub_nc_u16 v120, v200, v36
	s_delay_alu instid0(VALU_DEP_1) | instskip(NEXT) | instid1(VALU_DEP_1)
	v_mul_lo_u16 v36, v120, 48
	v_and_b32_e32 v36, 0xffff, v36
	s_delay_alu instid0(VALU_DEP_1)
	v_add_co_u32 v36, s8, s6, v36
	s_wait_alu 0xf1ff
	v_add_co_ci_u32_e64 v37, null, s7, 0, s8
	s_clause 0x2
	global_load_b128 v[200:203], v[36:37], off offset:368
	global_load_b128 v[204:207], v[36:37], off offset:352
	;; [unrolled: 1-line block ×3, first 2 shown]
	s_wait_loadcnt_dscnt 0x201
	v_mul_f32_e32 v106, v20, v201
	s_wait_loadcnt 0x1
	v_mul_f32_e32 v77, v28, v205
	s_wait_loadcnt 0x0
	v_mul_f32_e32 v36, v33, v209
	v_dual_mul_f32 v87, v32, v209 :: v_dual_mul_f32 v112, v38, v203
	v_fmac_f32_e32 v106, v21, v200
	v_fmac_f32_e32 v77, v29, v204
	s_delay_alu instid0(VALU_DEP_4) | instskip(SKIP_3) | instid1(VALU_DEP_3)
	v_fma_f32 v114, v32, v208, -v36
	v_mul_f32_e32 v32, v47, v211
	v_dual_fmac_f32 v112, v39, v202 :: v_dual_fmac_f32 v87, v33, v208
	v_mul_f32_e32 v97, v46, v211
	v_fma_f32 v96, v46, v210, -v32
	s_delay_alu instid0(VALU_DEP_2) | instskip(NEXT) | instid1(VALU_DEP_1)
	v_dual_mul_f32 v32, v29, v205 :: v_dual_fmac_f32 v97, v47, v210
	v_fma_f32 v132, v28, v204, -v32
	v_mul_f32_e32 v28, v43, v207
	s_delay_alu instid0(VALU_DEP_1) | instskip(SKIP_1) | instid1(VALU_DEP_1)
	v_fma_f32 v86, v42, v206, -v28
	v_mul_f32_e32 v28, v21, v201
	v_fma_f32 v105, v20, v200, -v28
	v_mul_f32_e32 v20, v39, v203
	s_delay_alu instid0(VALU_DEP_1) | instskip(SKIP_1) | instid1(VALU_DEP_1)
	v_fma_f32 v107, v38, v202, -v20
	v_mul_u32_u24_e32 v20, 0x4e5f, v216
	v_lshrrev_b32_e32 v20, 16, v20
	s_delay_alu instid0(VALU_DEP_1) | instskip(NEXT) | instid1(VALU_DEP_1)
	v_sub_nc_u16 v21, v217, v20
	v_lshrrev_b16 v21, 1, v21
	s_delay_alu instid0(VALU_DEP_1) | instskip(NEXT) | instid1(VALU_DEP_1)
	v_add_nc_u16 v20, v21, v20
	v_lshrrev_b16 v20, 5, v20
	s_delay_alu instid0(VALU_DEP_1) | instskip(NEXT) | instid1(VALU_DEP_1)
	v_mul_lo_u16 v20, v20, 49
	v_sub_nc_u16 v99, v217, v20
	s_delay_alu instid0(VALU_DEP_1) | instskip(NEXT) | instid1(VALU_DEP_1)
	v_mul_lo_u16 v20, v99, 48
	v_and_b32_e32 v20, 0xffff, v20
	s_delay_alu instid0(VALU_DEP_1)
	v_add_co_u32 v20, s8, s6, v20
	s_wait_alu 0xf1ff
	v_add_co_ci_u32_e64 v21, null, s7, 0, s8
	s_clause 0x2
	global_load_b128 v[36:39], v[20:21], off offset:368
	global_load_b128 v[216:219], v[20:21], off offset:352
	;; [unrolled: 1-line block ×3, first 2 shown]
	v_add_f32_e32 v21, v2, v1
	v_dual_sub_f32 v1, v2, v1 :: v_dual_add_f32 v2, v108, v146
	s_wait_loadcnt 0x2
	v_mul_f32_e32 v135, v22, v37
	s_wait_loadcnt 0x0
	v_dual_mul_f32 v133, v16, v219 :: v_dual_mul_f32 v20, v35, v229
	v_mul_f32_e32 v85, v24, v231
	v_mul_f32_e32 v79, v34, v229
	;; [unrolled: 1-line block ×3, first 2 shown]
	s_delay_alu instid0(VALU_DEP_4)
	v_fmac_f32_e32 v133, v17, v218
	v_fma_f32 v121, v34, v228, -v20
	v_mul_f32_e32 v20, v25, v231
	v_fmac_f32_e32 v85, v25, v230
	v_fmac_f32_e32 v135, v23, v36
	v_sub_f32_e32 v25, v147, v109
	v_fmac_f32_e32 v79, v35, v228
	v_fma_f32 v126, v24, v230, -v20
	v_mul_f32_e32 v20, v31, v217
	v_sub_f32_e32 v24, v146, v108
	scratch_store_b128 off, v[36:39], off offset:944 ; 16-byte Folded Spill
	v_sub_f32_e32 v35, v25, v1
	v_fmac_f32_e32 v115, v31, v216
	v_fma_f32 v20, v30, v216, -v20
	v_add_f32_e32 v33, v25, v1
	s_wait_dscnt 0x0
	v_mul_f32_e32 v145, v60, v39
	scratch_store_b32 off, v20, off offset:416 ; 4-byte Folded Spill
	v_dual_mul_f32 v20, v17, v219 :: v_dual_add_f32 v17, v66, v0
	v_dual_sub_f32 v0, v66, v0 :: v_dual_fmac_f32 v145, v61, v38
	s_delay_alu instid0(VALU_DEP_2)
	v_fma_f32 v127, v16, v218, -v20
	v_mul_f32_e32 v16, v23, v37
	v_add_f32_e32 v20, v76, v67
	v_add_f32_e32 v23, v109, v147
	;; [unrolled: 1-line block ×3, first 2 shown]
	v_sub_f32_e32 v31, v21, v17
	v_fma_f32 v134, v22, v36, -v16
	v_mul_f32_e32 v16, v61, v39
	v_sub_f32_e32 v22, v76, v67
	v_sub_f32_e32 v17, v17, v23
	;; [unrolled: 1-line block ×4, first 2 shown]
	v_fma_f32 v144, v60, v38, -v16
	v_add_f32_e32 v16, v62, v6
	v_sub_f32_e32 v6, v62, v6
	v_add_f32_e32 v32, v24, v22
	v_sub_f32_e32 v34, v24, v22
	v_sub_f32_e32 v25, v0, v25
	v_add_f32_e32 v28, v20, v16
	v_sub_f32_e32 v30, v20, v16
	v_sub_f32_e32 v16, v16, v2
	;; [unrolled: 1-line block ×4, first 2 shown]
	v_add_f32_e32 v2, v2, v28
	v_add_f32_e32 v28, v23, v29
	v_sub_f32_e32 v24, v6, v24
	v_add_f32_e32 v6, v32, v6
	v_mul_f32_e32 v32, 0xbf08b237, v35
	s_delay_alu instid0(VALU_DEP_4) | instskip(SKIP_2) | instid1(VALU_DEP_3)
	v_dual_add_f32 v22, v2, v12 :: v_dual_add_f32 v23, v28, v13
	v_add_f32_e32 v0, v33, v0
	v_dual_mul_f32 v12, 0x3f4a47b2, v16 :: v_dual_mul_f32 v13, 0x3f4a47b2, v17
	v_dual_mov_b32 v35, v22 :: v_dual_mul_f32 v16, 0x3d64c772, v20
	v_mul_f32_e32 v29, 0xbf08b237, v34
	v_dual_mul_f32 v33, 0xbf5ff5aa, v36 :: v_dual_mul_f32 v34, 0xbf5ff5aa, v1
	s_delay_alu instid0(VALU_DEP_3) | instskip(SKIP_3) | instid1(VALU_DEP_4)
	v_dual_fmac_f32 v35, 0xbf955555, v2 :: v_dual_mov_b32 v2, v23
	v_dual_mul_f32 v17, 0x3d64c772, v21 :: v_dual_fmamk_f32 v20, v20, 0x3d64c772, v12
	v_fmamk_f32 v21, v21, 0x3d64c772, v13
	v_fma_f32 v16, 0x3f3bfb3b, v30, -v16
	v_fmac_f32_e32 v2, 0xbf955555, v28
	v_fma_f32 v12, 0xbf3bfb3b, v30, -v12
	v_fmamk_f32 v28, v24, 0x3eae86e6, v29
	v_fmamk_f32 v30, v25, 0x3eae86e6, v32
	v_fma_f32 v29, 0x3f5ff5aa, v36, -v29
	v_fma_f32 v1, 0x3f5ff5aa, v1, -v32
	v_dual_fmac_f32 v33, 0xbeae86e6, v24 :: v_dual_fmac_f32 v34, 0xbeae86e6, v25
	v_fma_f32 v17, 0x3f3bfb3b, v31, -v17
	v_add_f32_e32 v32, v21, v2
	v_add_f32_e32 v16, v16, v35
	v_fmac_f32_e32 v28, 0x3ee1c552, v6
	v_dual_fmac_f32 v30, 0x3ee1c552, v0 :: v_dual_fmac_f32 v29, 0x3ee1c552, v6
	v_fmac_f32_e32 v1, 0x3ee1c552, v0
	v_dual_fmac_f32 v33, 0x3ee1c552, v6 :: v_dual_fmac_f32 v34, 0x3ee1c552, v0
	v_add_f32_e32 v0, v78, v111
	v_add_f32_e32 v6, v26, v19
	v_fma_f32 v13, 0xbf3bfb3b, v31, -v13
	v_add_f32_e32 v31, v20, v35
	v_add_f32_e32 v17, v17, v2
	v_sub_f32_e32 v25, v32, v28
	v_sub_f32_e32 v20, v16, v1
	v_add_f32_e32 v108, v1, v16
	v_add_f32_e32 v147, v28, v32
	;; [unrolled: 1-line block ×3, first 2 shown]
	v_sub_f32_e32 v3, v27, v3
	v_add_f32_e32 v27, v7, v110
	v_dual_sub_f32 v19, v26, v19 :: v_dual_add_f32 v26, v113, v18
	v_add_f32_e32 v28, v5, v4
	v_dual_sub_f32 v4, v4, v5 :: v_dual_add_f32 v5, v6, v0
	v_add_f32_e32 v2, v13, v2
	v_add_f32_e32 v21, v29, v17
	v_sub_f32_e32 v109, v17, v29
	v_sub_f32_e32 v18, v18, v113
	v_add_f32_e32 v29, v27, v1
	v_add_f32_e32 v5, v26, v5
	;; [unrolled: 1-line block ×4, first 2 shown]
	v_sub_f32_e32 v13, v2, v33
	v_add_f32_e32 v17, v33, v2
	v_sub_f32_e32 v146, v31, v30
	v_sub_f32_e32 v2, v78, v111
	;; [unrolled: 1-line block ×5, first 2 shown]
	v_add_f32_e32 v32, v18, v19
	v_add_f32_e32 v26, v28, v29
	;; [unrolled: 1-line block ×4, first 2 shown]
	v_sub_f32_e32 v16, v35, v34
	v_sub_f32_e32 v31, v27, v1
	;; [unrolled: 1-line block ×7, first 2 shown]
	v_dual_add_f32 v2, v32, v2 :: v_dual_add_f32 v45, v26, v15
	v_dual_mov_b32 v32, v44 :: v_dual_sub_f32 v7, v7, v110
	v_mul_f32_e32 v1, 0x3f4a47b2, v1
	v_mul_f32_e32 v15, 0x3d64c772, v27
	;; [unrolled: 1-line block ×4, first 2 shown]
	v_dual_fmac_f32 v32, 0xbf955555, v5 :: v_dual_mov_b32 v5, v45
	v_add_f32_e32 v33, v4, v7
	v_sub_f32_e32 v35, v4, v7
	v_dual_sub_f32 v7, v7, v3 :: v_dual_mul_f32 v0, 0x3f4a47b2, v0
	s_delay_alu instid0(VALU_DEP_4)
	v_fmac_f32_e32 v5, 0xbf955555, v26
	v_fmamk_f32 v26, v27, 0x3d64c772, v1
	v_fma_f32 v15, 0x3f3bfb3b, v31, -v15
	v_fma_f32 v1, 0xbf3bfb3b, v31, -v1
	v_fma_f32 v19, 0x3f5ff5aa, v19, -v28
	v_fmac_f32_e32 v36, 0xbeae86e6, v18
	v_sub_f32_e32 v4, v3, v4
	v_mul_f32_e32 v14, 0x3d64c772, v6
	v_mul_f32_e32 v29, 0xbf08b237, v35
	v_mul_f32_e32 v37, 0xbf5ff5aa, v7
	v_dual_fmamk_f32 v6, v6, 0x3d64c772, v0 :: v_dual_add_f32 v15, v15, v5
	v_add_f32_e32 v1, v1, v5
	v_fmac_f32_e32 v19, 0x3ee1c552, v2
	v_dual_fmac_f32 v36, 0x3ee1c552, v2 :: v_dual_add_f32 v3, v33, v3
	v_fma_f32 v14, 0x3f3bfb3b, v30, -v14
	v_fma_f32 v0, 0xbf3bfb3b, v30, -v0
	v_fmamk_f32 v38, v4, 0x3eae86e6, v29
	v_fma_f32 v7, 0x3f5ff5aa, v7, -v29
	v_fmac_f32_e32 v37, 0xbeae86e6, v4
	v_add_f32_e32 v4, v6, v32
	v_dual_add_f32 v6, v26, v5 :: v_dual_sub_f32 v35, v1, v36
	v_add_f32_e32 v29, v19, v15
	v_sub_f32_e32 v31, v15, v19
	v_add_f32_e32 v15, v36, v1
	v_add_f32_e32 v1, v103, v255
	v_dual_add_f32 v5, v101, v253 :: v_dual_mul_f32 v104, v42, v207
	v_add_f32_e32 v14, v14, v32
	v_add_f32_e32 v0, v0, v32
	v_fmac_f32_e32 v38, 0x3ee1c552, v3
	v_fmac_f32_e32 v7, 0x3ee1c552, v3
	;; [unrolled: 1-line block ×3, first 2 shown]
	v_add_f32_e32 v19, v249, v251
	v_dual_add_f32 v39, v5, v1 :: v_dual_fmac_f32 v104, v43, v206
	v_sub_f32_e32 v41, v5, v1
	v_fmamk_f32 v27, v18, 0x3eae86e6, v28
	v_add_f32_e32 v32, v38, v4
	v_add_f32_e32 v34, v37, v0
	v_sub_f32_e32 v28, v14, v7
	v_add_f32_e32 v30, v7, v14
	v_sub_f32_e32 v14, v0, v37
	v_sub_f32_e32 v26, v4, v38
	v_add_f32_e32 v0, v102, v254
	v_dual_add_f32 v4, v100, v252 :: v_dual_sub_f32 v1, v1, v19
	v_sub_f32_e32 v5, v19, v5
	v_add_f32_e32 v19, v19, v39
	s_delay_alu instid0(VALU_DEP_3) | instskip(SKIP_2) | instid1(VALU_DEP_4)
	v_dual_fmac_f32 v27, 0x3ee1c552, v2 :: v_dual_add_f32 v38, v4, v0
	v_sub_f32_e32 v3, v103, v255
	v_sub_f32_e32 v7, v101, v253
	v_add_f32_e32 v47, v19, v9
	v_dual_mul_f32 v9, 0x3d64c772, v5 :: v_dual_add_f32 v18, v248, v250
	v_sub_f32_e32 v33, v6, v27
	v_dual_add_f32 v27, v27, v6 :: v_dual_sub_f32 v6, v100, v252
	v_dual_sub_f32 v36, v250, v248 :: v_dual_sub_f32 v37, v251, v249
	v_sub_f32_e32 v40, v4, v0
	v_sub_f32_e32 v0, v0, v18
	;; [unrolled: 1-line block ×3, first 2 shown]
	v_add_f32_e32 v18, v18, v38
	v_sub_f32_e32 v2, v102, v254
	v_dual_add_f32 v42, v36, v6 :: v_dual_add_f32 v43, v37, v7
	v_sub_f32_e32 v49, v37, v7
	s_delay_alu instid0(VALU_DEP_4)
	v_dual_sub_f32 v7, v7, v3 :: v_dual_add_f32 v46, v18, v8
	v_sub_f32_e32 v48, v36, v6
	v_dual_sub_f32 v36, v2, v36 :: v_dual_sub_f32 v37, v3, v37
	v_sub_f32_e32 v6, v6, v2
	v_add_f32_e32 v2, v42, v2
	v_mul_f32_e32 v0, 0x3f4a47b2, v0
	v_mul_f32_e32 v39, 0xbf08b237, v49
	v_dual_mul_f32 v51, 0xbf5ff5aa, v7 :: v_dual_mov_b32 v42, v46
	v_add_f32_e32 v3, v43, v3
	v_mul_f32_e32 v1, 0x3f4a47b2, v1
	v_mul_f32_e32 v8, 0x3d64c772, v4
	;; [unrolled: 1-line block ×4, first 2 shown]
	v_fmac_f32_e32 v42, 0xbf955555, v18
	v_mov_b32_e32 v18, v47
	v_fmamk_f32 v4, v4, 0x3d64c772, v0
	v_fma_f32 v0, 0xbf3bfb3b, v40, -v0
	v_fmamk_f32 v54, v37, 0x3eae86e6, v39
	v_fmac_f32_e32 v51, 0xbeae86e6, v37
	v_fmac_f32_e32 v18, 0xbf955555, v19
	v_fmamk_f32 v5, v5, 0x3d64c772, v1
	v_fma_f32 v1, 0xbf3bfb3b, v41, -v1
	v_fmamk_f32 v19, v36, 0x3eae86e6, v38
	v_fmac_f32_e32 v50, 0xbeae86e6, v36
	v_add_f32_e32 v4, v4, v42
	v_add_f32_e32 v0, v0, v42
	v_fmac_f32_e32 v54, 0x3ee1c552, v3
	v_fmac_f32_e32 v51, 0x3ee1c552, v3
	v_fma_f32 v8, 0x3f3bfb3b, v40, -v8
	v_fma_f32 v9, 0x3f3bfb3b, v41, -v9
	;; [unrolled: 1-line block ×4, first 2 shown]
	v_add_f32_e32 v5, v5, v18
	v_add_f32_e32 v1, v1, v18
	v_fmac_f32_e32 v19, 0x3ee1c552, v2
	v_fmac_f32_e32 v50, 0x3ee1c552, v2
	v_add_f32_e32 v48, v54, v4
	v_add_f32_e32 v40, v51, v0
	v_sub_f32_e32 v36, v0, v51
	v_sub_f32_e32 v38, v4, v54
	v_add_f32_e32 v0, v80, v246
	v_add_f32_e32 v4, v57, v244
	;; [unrolled: 1-line block ×4, first 2 shown]
	v_dual_fmac_f32 v6, 0x3ee1c552, v2 :: v_dual_fmac_f32 v7, 0x3ee1c552, v3
	v_sub_f32_e32 v49, v5, v19
	v_sub_f32_e32 v41, v1, v50
	v_add_f32_e32 v37, v50, v1
	v_add_f32_e32 v39, v19, v5
	;; [unrolled: 1-line block ×6, first 2 shown]
	v_sub_f32_e32 v51, v243, v52
	v_add_f32_e32 v52, v4, v0
	v_dual_sub_f32 v42, v8, v7 :: v_dual_add_f32 v43, v6, v9
	v_dual_add_f32 v8, v7, v8 :: v_dual_sub_f32 v9, v9, v6
	v_sub_f32_e32 v3, v81, v247
	v_dual_sub_f32 v6, v57, v244 :: v_dual_sub_f32 v7, v242, v245
	v_sub_f32_e32 v50, v53, v56
	v_dual_add_f32 v53, v5, v1 :: v_dual_sub_f32 v54, v4, v0
	v_sub_f32_e32 v0, v0, v18
	v_sub_f32_e32 v4, v18, v4
	v_add_f32_e32 v18, v18, v52
	v_dual_sub_f32 v2, v80, v246 :: v_dual_sub_f32 v55, v5, v1
	v_sub_f32_e32 v1, v1, v19
	v_dual_sub_f32 v5, v19, v5 :: v_dual_add_f32 v56, v50, v6
	v_add_f32_e32 v57, v51, v7
	v_sub_f32_e32 v61, v51, v7
	v_sub_f32_e32 v7, v7, v3
	v_dual_add_f32 v19, v19, v53 :: v_dual_add_f32 v58, v18, v10
	v_sub_f32_e32 v60, v50, v6
	v_dual_sub_f32 v50, v2, v50 :: v_dual_sub_f32 v51, v3, v51
	v_sub_f32_e32 v6, v6, v2
	s_delay_alu instid0(VALU_DEP_4)
	v_dual_add_f32 v2, v56, v2 :: v_dual_add_f32 v59, v19, v11
	v_mul_f32_e32 v0, 0x3f4a47b2, v0
	v_mul_f32_e32 v53, 0xbf08b237, v61
	v_dual_mul_f32 v61, 0xbf5ff5aa, v7 :: v_dual_mov_b32 v56, v58
	v_add_f32_e32 v3, v57, v3
	v_mul_f32_e32 v1, 0x3f4a47b2, v1
	v_mul_f32_e32 v10, 0x3d64c772, v4
	;; [unrolled: 1-line block ×4, first 2 shown]
	v_fmac_f32_e32 v56, 0xbf955555, v18
	v_mov_b32_e32 v18, v59
	v_fmamk_f32 v4, v4, 0x3d64c772, v0
	v_fma_f32 v0, 0xbf3bfb3b, v54, -v0
	v_fmamk_f32 v62, v51, 0x3eae86e6, v53
	v_fmac_f32_e32 v61, 0xbeae86e6, v51
	v_mul_f32_e32 v11, 0x3d64c772, v5
	v_fmac_f32_e32 v18, 0xbf955555, v19
	v_fmamk_f32 v5, v5, 0x3d64c772, v1
	v_fma_f32 v1, 0xbf3bfb3b, v55, -v1
	v_fmamk_f32 v19, v50, 0x3eae86e6, v52
	v_fmac_f32_e32 v60, 0xbeae86e6, v50
	v_add_f32_e32 v4, v4, v56
	v_add_f32_e32 v0, v0, v56
	v_fmac_f32_e32 v62, 0x3ee1c552, v3
	v_fmac_f32_e32 v61, 0x3ee1c552, v3
	v_fma_f32 v10, 0x3f3bfb3b, v54, -v10
	v_fma_f32 v11, 0x3f3bfb3b, v55, -v11
	;; [unrolled: 1-line block ×4, first 2 shown]
	v_add_f32_e32 v5, v5, v18
	v_add_f32_e32 v1, v1, v18
	v_fmac_f32_e32 v19, 0x3ee1c552, v2
	v_fmac_f32_e32 v60, 0x3ee1c552, v2
	v_add_f32_e32 v80, v62, v4
	v_add_f32_e32 v54, v61, v0
	v_sub_f32_e32 v50, v0, v61
	v_sub_f32_e32 v52, v4, v62
	v_add_f32_e32 v0, v82, v240
	v_add_f32_e32 v4, v84, v94
	v_dual_add_f32 v10, v10, v56 :: v_dual_add_f32 v11, v11, v18
	v_fmac_f32_e32 v7, 0x3ee1c552, v3
	v_sub_f32_e32 v81, v5, v19
	v_sub_f32_e32 v55, v1, v60
	v_add_f32_e32 v51, v60, v1
	v_add_f32_e32 v53, v19, v5
	;; [unrolled: 1-line block ×3, first 2 shown]
	v_dual_add_f32 v5, v63, v95 :: v_dual_add_f32 v18, v90, v92
	v_add_f32_e32 v62, v4, v0
	v_fmac_f32_e32 v6, 0x3ee1c552, v2
	v_sub_f32_e32 v56, v10, v7
	v_add_f32_e32 v10, v7, v10
	v_sub_f32_e32 v7, v63, v95
	v_add_f32_e32 v19, v91, v93
	v_dual_add_f32 v63, v5, v1 :: v_dual_sub_f32 v66, v4, v0
	v_sub_f32_e32 v0, v0, v18
	v_sub_f32_e32 v4, v18, v4
	v_add_f32_e32 v18, v18, v62
	v_add_f32_e32 v57, v6, v11
	v_sub_f32_e32 v11, v11, v6
	v_dual_sub_f32 v3, v83, v241 :: v_dual_sub_f32 v6, v84, v94
	v_dual_sub_f32 v60, v92, v90 :: v_dual_sub_f32 v61, v93, v91
	v_sub_f32_e32 v67, v5, v1
	v_sub_f32_e32 v1, v1, v19
	;; [unrolled: 1-line block ×3, first 2 shown]
	v_dual_add_f32 v19, v19, v63 :: v_dual_add_f32 v92, v18, v160
	v_sub_f32_e32 v2, v82, v240
	v_dual_add_f32 v68, v60, v6 :: v_dual_add_f32 v69, v61, v7
	v_dual_sub_f32 v70, v60, v6 :: v_dual_sub_f32 v71, v61, v7
	v_sub_f32_e32 v7, v7, v3
	v_dual_add_f32 v93, v19, v161 :: v_dual_mov_b32 v76, v92
	v_dual_sub_f32 v60, v2, v60 :: v_dual_sub_f32 v61, v3, v61
	v_sub_f32_e32 v6, v6, v2
	v_dual_add_f32 v2, v68, v2 :: v_dual_add_f32 v3, v69, v3
	v_mul_f32_e32 v0, 0x3f4a47b2, v0
	v_dual_mul_f32 v62, 0x3d64c772, v4 :: v_dual_mul_f32 v63, 0x3d64c772, v5
	v_dual_mul_f32 v68, 0xbf08b237, v70 :: v_dual_mul_f32 v69, 0xbf08b237, v71
	v_mul_f32_e32 v71, 0xbf5ff5aa, v7
	v_fmac_f32_e32 v76, 0xbf955555, v18
	v_dual_mov_b32 v18, v93 :: v_dual_mul_f32 v1, 0x3f4a47b2, v1
	v_mul_f32_e32 v70, 0xbf5ff5aa, v6
	v_fmamk_f32 v4, v4, 0x3d64c772, v0
	v_fma_f32 v0, 0xbf3bfb3b, v66, -v0
	s_delay_alu instid0(VALU_DEP_4)
	v_fmac_f32_e32 v18, 0xbf955555, v19
	v_fma_f32 v19, 0x3f3bfb3b, v66, -v62
	v_fma_f32 v62, 0x3f3bfb3b, v67, -v63
	v_fmamk_f32 v66, v61, 0x3eae86e6, v69
	v_fma_f32 v6, 0x3f5ff5aa, v6, -v68
	v_fmac_f32_e32 v71, 0xbeae86e6, v61
	v_fmamk_f32 v5, v5, 0x3d64c772, v1
	v_fma_f32 v1, 0xbf3bfb3b, v67, -v1
	v_fmamk_f32 v63, v60, 0x3eae86e6, v68
	v_fmac_f32_e32 v70, 0xbeae86e6, v60
	v_add_f32_e32 v4, v4, v76
	v_add_f32_e32 v60, v62, v18
	;; [unrolled: 1-line block ×3, first 2 shown]
	v_fmac_f32_e32 v66, 0x3ee1c552, v3
	v_dual_fmac_f32 v6, 0x3ee1c552, v2 :: v_dual_fmac_f32 v71, 0x3ee1c552, v3
	v_fma_f32 v7, 0x3f5ff5aa, v7, -v69
	v_add_f32_e32 v5, v5, v18
	v_add_f32_e32 v1, v1, v18
	v_fmac_f32_e32 v63, 0x3ee1c552, v2
	v_fmac_f32_e32 v70, 0x3ee1c552, v2
	v_add_f32_e32 v94, v66, v4
	v_add_f32_e32 v82, v71, v0
	;; [unrolled: 1-line block ×3, first 2 shown]
	v_sub_f32_e32 v101, v60, v6
	v_sub_f32_e32 v60, v0, v71
	;; [unrolled: 1-line block ×3, first 2 shown]
	v_add_f32_e32 v0, v114, v107
	v_dual_add_f32 v4, v96, v105 :: v_dual_add_f32 v19, v19, v76
	v_fmac_f32_e32 v7, 0x3ee1c552, v3
	v_sub_f32_e32 v95, v5, v63
	v_sub_f32_e32 v83, v1, v70
	v_add_f32_e32 v61, v70, v1
	v_add_f32_e32 v63, v63, v5
	;; [unrolled: 1-line block ×6, first 2 shown]
	v_sub_f32_e32 v90, v19, v7
	v_dual_add_f32 v100, v7, v19 :: v_dual_add_f32 v19, v77, v104
	v_dual_add_f32 v69, v5, v1 :: v_dual_sub_f32 v70, v4, v0
	v_sub_f32_e32 v0, v0, v18
	v_sub_f32_e32 v4, v18, v4
	v_add_f32_e32 v18, v18, v68
	v_sub_f32_e32 v3, v87, v112
	v_sub_f32_e32 v71, v5, v1
	;; [unrolled: 1-line block ×4, first 2 shown]
	v_dual_add_f32 v19, v19, v69 :: v_dual_add_f32 v112, v18, v162
	v_sub_f32_e32 v2, v114, v107
	v_sub_f32_e32 v6, v96, v105
	s_delay_alu instid0(VALU_DEP_3) | instskip(NEXT) | instid1(VALU_DEP_4)
	v_dual_sub_f32 v66, v86, v132 :: v_dual_add_f32 v113, v19, v163
	v_dual_mov_b32 v86, v112 :: v_dual_mul_f32 v1, 0x3f4a47b2, v1
	v_mul_f32_e32 v68, 0x3d64c772, v4
	s_delay_alu instid0(VALU_DEP_3)
	v_add_f32_e32 v76, v66, v6
	v_sub_f32_e32 v78, v66, v6
	v_dual_sub_f32 v6, v6, v2 :: v_dual_mul_f32 v69, 0x3d64c772, v5
	v_fmac_f32_e32 v86, 0xbf955555, v18
	v_mov_b32_e32 v18, v113
	v_sub_f32_e32 v66, v2, v66
	v_add_f32_e32 v2, v76, v2
	v_mul_f32_e32 v76, 0xbf08b237, v78
	v_mul_f32_e32 v78, 0xbf5ff5aa, v6
	v_fmac_f32_e32 v18, 0xbf955555, v19
	v_fmamk_f32 v5, v5, 0x3d64c772, v1
	v_fma_f32 v19, 0x3f3bfb3b, v70, -v68
	v_fma_f32 v68, 0x3f3bfb3b, v71, -v69
	v_fmamk_f32 v69, v66, 0x3eae86e6, v76
	v_fmac_f32_e32 v78, 0xbeae86e6, v66
	v_add_f32_e32 v66, v5, v18
	v_add_f32_e32 v5, v19, v86
	;; [unrolled: 1-line block ×3, first 2 shown]
	scratch_load_b32 v68, off, off offset:416 th:TH_LOAD_LU ; 4-byte Folded Reload
	v_sub_f32_e32 v7, v97, v106
	v_dual_sub_f32 v67, v104, v77 :: v_dual_mul_f32 v0, 0x3f4a47b2, v0
	v_fma_f32 v1, 0xbf3bfb3b, v71, -v1
	v_fma_f32 v6, 0x3f5ff5aa, v6, -v76
	v_fmac_f32_e32 v69, 0x3ee1c552, v2
	s_delay_alu instid0(VALU_DEP_4) | instskip(SKIP_3) | instid1(VALU_DEP_4)
	v_add_f32_e32 v77, v67, v7
	v_sub_f32_e32 v84, v67, v7
	v_sub_f32_e32 v7, v7, v3
	v_dual_sub_f32 v67, v3, v67 :: v_dual_fmamk_f32 v4, v4, 0x3d64c772, v0
	v_add_f32_e32 v3, v77, v3
	s_delay_alu instid0(VALU_DEP_4) | instskip(NEXT) | instid1(VALU_DEP_4)
	v_mul_f32_e32 v77, 0xbf08b237, v84
	v_mul_f32_e32 v84, 0xbf5ff5aa, v7
	v_fma_f32 v0, 0xbf3bfb3b, v70, -v0
	v_add_f32_e32 v4, v4, v86
	s_delay_alu instid0(VALU_DEP_4) | instskip(NEXT) | instid1(VALU_DEP_4)
	v_dual_add_f32 v1, v1, v18 :: v_dual_fmamk_f32 v70, v67, 0x3eae86e6, v77
	v_fmac_f32_e32 v84, 0xbeae86e6, v67
	v_fma_f32 v7, 0x3f5ff5aa, v7, -v77
	v_add_f32_e32 v0, v0, v86
	v_fmac_f32_e32 v78, 0x3ee1c552, v2
	v_fmac_f32_e32 v70, 0x3ee1c552, v3
	;; [unrolled: 1-line block ×4, first 2 shown]
	v_sub_f32_e32 v77, v66, v69
	s_delay_alu instid0(VALU_DEP_4) | instskip(NEXT) | instid1(VALU_DEP_4)
	v_dual_sub_f32 v105, v1, v78 :: v_dual_add_f32 v76, v70, v4
	v_add_f32_e32 v104, v84, v0
	v_sub_f32_e32 v96, v0, v84
	v_sub_f32_e32 v86, v4, v70
	v_add_f32_e32 v0, v121, v144
	v_add_f32_e32 v4, v126, v134
	v_dual_sub_f32 v106, v5, v7 :: v_dual_add_f32 v5, v7, v5
	v_add_f32_e32 v97, v78, v1
	v_add_f32_e32 v87, v69, v66
	;; [unrolled: 1-line block ×3, first 2 shown]
	v_dual_add_f32 v7, v85, v135 :: v_dual_add_f32 v70, v4, v0
	v_dual_sub_f32 v18, v126, v134 :: v_dual_add_f32 v67, v115, v133
	s_delay_alu instid0(VALU_DEP_2)
	v_dual_sub_f32 v78, v4, v0 :: v_dual_add_f32 v71, v7, v1
	v_fmac_f32_e32 v6, 0x3ee1c552, v2
	v_dual_sub_f32 v2, v121, v144 :: v_dual_sub_f32 v3, v79, v145
	v_sub_f32_e32 v79, v7, v1
	v_sub_f32_e32 v1, v1, v67
	;; [unrolled: 1-line block ×3, first 2 shown]
	v_add_f32_e32 v67, v67, v71
	v_add_nc_u32_e32 v121, 0x800, v98
	global_wb scope:SCOPE_SE
	s_wait_loadcnt 0x0
	s_wait_storecnt 0x0
	s_barrier_signal -1
	s_barrier_wait -1
	v_add_f32_e32 v145, v67, v65
	global_inv scope:SCOPE_SE
	ds_store_2addr_b64 v98, v[22:23], v[24:25] offset1:49
	ds_store_2addr_b64 v98, v[12:13], v[20:21] offset0:98 offset1:147
	ds_store_2addr_b64 v98, v[108:109], v[16:17] offset0:196 offset1:245
	;; [unrolled: 1-line block ×4, first 2 shown]
	v_dual_add_f32 v107, v6, v19 :: v_dual_sub_f32 v6, v19, v6
	v_sub_f32_e32 v19, v85, v135
	v_dual_sub_f32 v69, v133, v115 :: v_dual_add_nc_u32 v16, 0xc00, v98
	v_mul_f32_e32 v1, 0x3f4a47b2, v1
	v_mul_f32_e32 v65, 0x3d64c772, v7
	v_add_nc_u32_e32 v17, 0x4000, v98
	s_delay_alu instid0(VALU_DEP_4)
	v_add_f32_e32 v85, v69, v19
	v_sub_f32_e32 v103, v69, v19
	v_sub_f32_e32 v19, v19, v3
	;; [unrolled: 1-line block ×3, first 2 shown]
	ds_store_2addr_b64 v16, v[28:29], v[30:31] offset0:106 offset1:155
	v_add_f32_e32 v3, v85, v3
	v_mul_f32_e32 v71, 0xbf08b237, v103
	v_mul_f32_e32 v103, 0xbf5ff5aa, v19
	v_fmamk_f32 v7, v7, 0x3d64c772, v1
	v_fma_f32 v65, 0x3f3bfb3b, v79, -v65
	v_fma_f32 v1, 0xbf3bfb3b, v79, -v1
	v_fmamk_f32 v110, v69, 0x3eae86e6, v71
	v_fmac_f32_e32 v103, 0xbeae86e6, v69
	v_fma_f32 v19, 0x3f5ff5aa, v19, -v71
	s_delay_alu instid0(VALU_DEP_3) | instskip(NEXT) | instid1(VALU_DEP_3)
	v_fmac_f32_e32 v110, 0x3ee1c552, v3
	v_fmac_f32_e32 v103, 0x3ee1c552, v3
	s_delay_alu instid0(VALU_DEP_3) | instskip(SKIP_2) | instid1(VALU_DEP_2)
	v_fmac_f32_e32 v19, 0x3ee1c552, v3
	v_add_f32_e32 v66, v68, v127
	v_dual_sub_f32 v68, v127, v68 :: v_dual_add_nc_u32 v127, 0x3000, v98
	v_sub_f32_e32 v0, v0, v66
	v_sub_f32_e32 v4, v66, v4
	v_add_f32_e32 v66, v66, v70
	s_delay_alu instid0(VALU_DEP_4)
	v_add_f32_e32 v84, v68, v18
	v_sub_f32_e32 v102, v68, v18
	v_sub_f32_e32 v68, v2, v68
	;; [unrolled: 1-line block ×3, first 2 shown]
	v_add_f32_e32 v144, v66, v64
	v_add_f32_e32 v2, v84, v2
	v_mul_f32_e32 v70, 0xbf08b237, v102
	v_mul_f32_e32 v0, 0x3f4a47b2, v0
	;; [unrolled: 1-line block ×3, first 2 shown]
	v_mov_b32_e32 v84, v144
	v_mul_f32_e32 v64, 0x3d64c772, v4
	v_fma_f32 v18, 0x3f5ff5aa, v18, -v70
	v_fmamk_f32 v4, v4, 0x3d64c772, v0
	v_fmac_f32_e32 v102, 0xbeae86e6, v68
	v_fmac_f32_e32 v84, 0xbf955555, v66
	v_mov_b32_e32 v66, v145
	v_fmac_f32_e32 v18, 0x3ee1c552, v2
	v_fma_f32 v0, 0xbf3bfb3b, v78, -v0
	v_fmac_f32_e32 v102, 0x3ee1c552, v2
	v_fma_f32 v64, 0x3f3bfb3b, v78, -v64
	v_fmac_f32_e32 v66, 0xbf955555, v67
	v_fmamk_f32 v67, v68, 0x3eae86e6, v70
	v_add_f32_e32 v4, v4, v84
	v_add_f32_e32 v0, v0, v84
	s_delay_alu instid0(VALU_DEP_4) | instskip(NEXT) | instid1(VALU_DEP_4)
	v_dual_add_f32 v64, v64, v84 :: v_dual_add_f32 v7, v7, v66
	v_fmac_f32_e32 v67, 0x3ee1c552, v2
	scratch_load_b32 v2, off, off offset:412 th:TH_LOAD_LU ; 4-byte Folded Reload
	v_add_f32_e32 v84, v110, v4
	v_add_f32_e32 v132, v103, v0
	v_sub_f32_e32 v114, v0, v103
	v_sub_f32_e32 v0, v4, v110
	v_add_nc_u32_e32 v4, 0x1000, v98
	v_add_f32_e32 v65, v65, v66
	v_add_f32_e32 v1, v1, v66
	v_sub_f32_e32 v85, v7, v67
	v_sub_f32_e32 v134, v64, v19
	ds_store_2addr_b64 v4, v[14:15], v[26:27] offset0:76 offset1:125
	v_add_f32_e32 v135, v18, v65
	v_dual_sub_f32 v133, v1, v102 :: v_dual_add_f32 v78, v19, v64
	v_sub_f32_e32 v79, v65, v18
	v_add_f32_e32 v115, v102, v1
	s_wait_loadcnt 0x0
	v_dual_add_f32 v1, v67, v7 :: v_dual_lshlrev_b32 v2, 3, v2
	s_delay_alu instid0(VALU_DEP_1)
	v_add_nc_u32_e32 v3, 0x1000, v2
	s_clause 0x1
	scratch_store_b32 off, v3, off offset:436
	scratch_store_b32 off, v2, off offset:440
	ds_store_2addr_b64 v3, v[46:47], v[48:49] offset0:174 offset1:223
	v_add_nc_u32_e32 v3, 0x1800, v2
	ds_store_2addr_b64 v3, v[40:41], v[42:43] offset0:16 offset1:65
	scratch_store_b32 off, v3, off offset:492 ; 4-byte Folded Spill
	ds_store_2addr_b64 v3, v[8:9], v[36:37] offset0:114 offset1:163
	ds_store_b64 v2, v[38:39] offset:7840
	scratch_load_b32 v2, off, off offset:408 th:TH_LOAD_LU ; 4-byte Folded Reload
	v_add_nc_u32_e32 v9, 0x2000, v98
	v_add_nc_u32_e32 v8, 0x2800, v98
	s_wait_loadcnt 0x0
	v_lshlrev_b32_e32 v2, 3, v2
	s_delay_alu instid0(VALU_DEP_1)
	v_add_nc_u32_e32 v3, 0x2000, v2
	s_clause 0x1
	scratch_store_b32 off, v2, off offset:432
	scratch_store_b32 off, v3, off offset:500
	ds_store_2addr_b64 v3, v[58:59], v[80:81] offset0:5 offset1:54
	ds_store_2addr_b64 v3, v[54:55], v[56:57] offset0:103 offset1:152
	;; [unrolled: 1-line block ×3, first 2 shown]
	ds_store_b64 v2, v[52:53] offset:10584
	scratch_load_b32 v2, off, off offset:404 th:TH_LOAD_LU ; 4-byte Folded Reload
	v_dual_mov_b32 v10, v4 :: v_dual_add_nc_u32 v11, 0x3400, v98
	s_wait_loadcnt 0x0
	v_lshlrev_b32_e32 v2, 3, v2
	s_delay_alu instid0(VALU_DEP_1)
	v_add_nc_u32_e32 v3, 0x2800, v2
	ds_store_2addr_b64 v3, v[92:93], v[94:95] offset0:92 offset1:141
	scratch_store_b32 off, v3, off offset:496 ; 4-byte Folded Spill
	ds_store_2addr_b64 v3, v[82:83], v[90:91] offset0:190 offset1:239
	v_add_nc_u32_e32 v3, 0x3000, v2
	s_clause 0x1
	scratch_store_b32 off, v2, off offset:404
	scratch_store_b32 off, v3, off offset:408
	ds_store_2addr_b64 v3, v[100:101], v[60:61] offset0:32 offset1:81
	ds_store_b64 v2, v[62:63] offset:13328
	v_and_b32_e32 v2, 0xffff, v120
	v_mov_b32_e32 v120, v17
	s_delay_alu instid0(VALU_DEP_2) | instskip(NEXT) | instid1(VALU_DEP_1)
	v_lshlrev_b32_e32 v2, 3, v2
	v_add_nc_u32_e32 v3, 0x3000, v2
	s_clause 0x1
	scratch_store_b32 off, v3, off offset:412
	scratch_store_b32 off, v2, off offset:416
	ds_store_2addr_b64 v3, v[112:113], v[76:77] offset0:179 offset1:228
	v_add_nc_u32_e32 v3, 0x3800, v2
	ds_store_2addr_b64 v3, v[104:105], v[106:107] offset0:21 offset1:70
	scratch_store_b32 off, v3, off offset:420 ; 4-byte Folded Spill
	ds_store_2addr_b64 v3, v[5:6], v[96:97] offset0:119 offset1:168
	ds_store_b64 v2, v[86:87] offset:16072
	v_and_b32_e32 v2, 0xffff, v99
	s_delay_alu instid0(VALU_DEP_1) | instskip(NEXT) | instid1(VALU_DEP_1)
	v_lshlrev_b32_e32 v2, 3, v2
	v_add_nc_u32_e32 v3, 0x4000, v2
	s_clause 0x1
	scratch_store_b32 off, v2, off offset:424
	scratch_store_b32 off, v3, off offset:428
	ds_store_2addr_b64 v3, v[144:145], v[84:85] offset0:10 offset1:59
	ds_store_2addr_b64 v3, v[132:133], v[134:135] offset0:108 offset1:157
	;; [unrolled: 1-line block ×3, first 2 shown]
	ds_store_b64 v2, v[0:1] offset:18816
	global_wb scope:SCOPE_SE
	s_wait_storecnt_dscnt 0x0
	s_barrier_signal -1
	s_barrier_wait -1
	global_inv scope:SCOPE_SE
	ds_load_2addr_b64 v[46:49], v98 offset1:49
	ds_load_2addr_b64 v[240:243], v121 offset0:38 offset1:87
	ds_load_2addr_b64 v[0:3], v4 offset0:174 offset1:223
	v_add_nc_u32_e32 v4, 0x1c00, v98
	ds_load_2addr_b64 v[50:53], v8 offset0:92 offset1:141
	ds_load_2addr_b64 v[12:15], v4 offset0:84 offset1:133
	;; [unrolled: 1-line block ×8, first 2 shown]
	v_add_nc_u32_e32 v11, 0x1800, v98
	ds_load_2addr_b64 v[112:115], v11 offset0:16 offset1:65
	ds_load_2addr_b64 v[132:135], v8 offset0:190 offset1:239
	;; [unrolled: 1-line block ×5, first 2 shown]
	v_add_nc_u32_e32 v9, 0x3800, v98
	v_add_nc_u32_e32 v8, 0x2400, v98
	ds_load_2addr_b64 v[36:39], v9 offset0:70 offset1:119
	ds_load_2addr_b64 v[244:247], v98 offset0:196 offset1:245
	;; [unrolled: 1-line block ×8, first 2 shown]
	ds_load_b64 v[44:45], v98 offset:18816
	s_clause 0x2
	global_load_b128 v[68:71], v[88:89], off offset:2720
	global_load_b128 v[76:79], v[88:89], off offset:2704
	;; [unrolled: 1-line block ×3, first 2 shown]
	s_wait_loadcnt_dscnt 0x213
	v_mul_f32_e32 v85, v6, v69
	s_wait_loadcnt 0x1
	v_mul_f32_e32 v67, v14, v77
	s_wait_loadcnt 0x0
	v_mul_f32_e32 v62, v243, v81
	v_mul_f32_e32 v65, v242, v81
	scratch_store_b128 off, v[80:83], off offset:444 ; 16-byte Folded Spill
	v_mul_f32_e32 v81, v0, v83
	s_clause 0x1
	scratch_store_b128 off, v[76:79], off offset:460
	scratch_store_b128 off, v[68:71], off offset:476
	v_fma_f32 v64, v242, v80, -v62
	v_dual_mul_f32 v62, v1, v83 :: v_dual_fmac_f32 v65, v243, v80
	v_fmac_f32_e32 v67, v15, v76
	v_fmac_f32_e32 v85, v7, v68
	;; [unrolled: 1-line block ×3, first 2 shown]
	s_delay_alu instid0(VALU_DEP_4) | instskip(SKIP_3) | instid1(VALU_DEP_2)
	v_fma_f32 v80, v0, v82, -v62
	s_wait_dscnt 0x12
	v_dual_mul_f32 v0, v15, v77 :: v_dual_mul_f32 v89, v54, v71
	v_mul_f32_e32 v77, v50, v79
	v_fma_f32 v66, v14, v76, -v0
	v_mul_f32_e32 v0, v51, v79
	s_delay_alu instid0(VALU_DEP_4) | instskip(NEXT) | instid1(VALU_DEP_4)
	v_fmac_f32_e32 v89, v55, v70
	v_fmac_f32_e32 v77, v51, v78
	s_delay_alu instid0(VALU_DEP_3) | instskip(SKIP_1) | instid1(VALU_DEP_1)
	v_fma_f32 v76, v50, v78, -v0
	v_mul_f32_e32 v0, v7, v69
	v_fma_f32 v84, v6, v68, -v0
	v_mul_f32_e32 v0, v55, v71
	s_delay_alu instid0(VALU_DEP_1)
	v_fma_f32 v88, v54, v70, -v0
	scratch_load_b32 v0, off, off offset:504 th:TH_LOAD_LU ; 4-byte Folded Reload
	s_wait_loadcnt 0x0
	v_mad_co_u64_u32 v[68:69], null, v0, 48, s[6:7]
	s_clause 0x2
	global_load_b128 v[106:109], v[68:69], off offset:2720
	global_load_b128 v[100:103], v[68:69], off offset:2704
	;; [unrolled: 1-line block ×3, first 2 shown]
	s_mov_b32 s6, 0x5cf97efd
	s_mov_b32 s7, 0x3f3b4b98
	s_wait_loadcnt 0x2
	scratch_store_b128 off, v[106:109], off offset:588 ; 16-byte Folded Spill
	s_wait_loadcnt_dscnt 0x11
	v_dual_mul_f32 v0, v59, v253 :: v_dual_mul_f32 v111, v2, v255
	v_mul_f32_e32 v105, v58, v253
	scratch_store_b128 off, v[252:255], off offset:504 ; 16-byte Folded Spill
	v_fma_f32 v104, v58, v252, -v0
	v_mul_f32_e32 v0, v3, v255
	v_fmac_f32_e32 v111, v3, v254
	v_fmac_f32_e32 v105, v59, v252
	s_delay_alu instid0(VALU_DEP_3) | instskip(SKIP_2) | instid1(VALU_DEP_1)
	v_fma_f32 v110, v2, v254, -v0
	s_wait_dscnt 0x10
	v_mul_f32_e32 v0, v91, v101
	v_fma_f32 v99, v90, v100, -v0
	v_dual_mov_b32 v0, v100 :: v_dual_mov_b32 v1, v101
	v_dual_mov_b32 v3, v103 :: v_dual_mov_b32 v2, v102
	s_delay_alu instid0(VALU_DEP_1) | instskip(NEXT) | instid1(VALU_DEP_2)
	v_dual_mul_f32 v100, v90, v1 :: v_dual_mov_b32 v255, v3
	v_dual_mov_b32 v254, v2 :: v_dual_mov_b32 v253, v1
	s_delay_alu instid0(VALU_DEP_4) | instskip(NEXT) | instid1(VALU_DEP_3)
	v_mov_b32_e32 v252, v0
	v_fmac_f32_e32 v100, v91, v0
	s_delay_alu instid0(VALU_DEP_4)
	v_mul_f32_e32 v0, v53, v255
	v_mul_f32_e32 v2, v52, v255
	s_wait_dscnt 0xf
	v_mul_f32_e32 v1, v94, v107
	scratch_store_b128 off, v[252:255], off offset:568 ; 16-byte Folded Spill
	v_fma_f32 v242, v52, v254, -v0
	v_mul_f32_e32 v0, v95, v107
	v_fmac_f32_e32 v2, v53, v254
	v_fmac_f32_e32 v1, v95, v106
	s_delay_alu instid0(VALU_DEP_3) | instskip(SKIP_1) | instid1(VALU_DEP_1)
	v_fma_f32 v86, v94, v106, -v0
	v_mul_f32_e32 v0, v57, v109
	v_fma_f32 v58, v56, v108, -v0
	v_mul_f32_e32 v0, v56, v109
	s_delay_alu instid0(VALU_DEP_1)
	v_fmac_f32_e32 v0, v57, v108
	s_clause 0x2
	global_load_b128 v[54:57], v[68:69], off offset:5072
	global_load_b128 v[252:255], v[68:69], off offset:5056
	;; [unrolled: 1-line block ×3, first 2 shown]
	s_wait_loadcnt 0x2
	scratch_store_b128 off, v[54:57], off offset:636 ; 16-byte Folded Spill
	s_wait_loadcnt 0x0
	v_dual_mul_f32 v6, v92, v253 :: v_dual_mul_f32 v3, v61, v107
	scratch_store_b128 off, v[106:109], off offset:604 ; 16-byte Folded Spill
	v_mul_f32_e32 v82, v60, v107
	s_wait_dscnt 0xc
	v_mul_f32_e32 v107, v132, v255
	scratch_store_b128 off, v[252:255], off offset:620 ; 16-byte Folded Spill
	v_fma_f32 v103, v60, v106, -v3
	v_mul_f32_e32 v3, v113, v109
	v_fmac_f32_e32 v82, v61, v106
	v_fmac_f32_e32 v6, v93, v252
	;; [unrolled: 1-line block ×3, first 2 shown]
	v_mul_f32_e32 v53, v112, v109
	v_fma_f32 v52, v112, v108, -v3
	v_mul_f32_e32 v3, v93, v253
	s_wait_dscnt 0xb
	v_mul_f32_e32 v7, v145, v57
	v_mul_f32_e32 v109, v144, v57
	v_fmac_f32_e32 v53, v113, v108
	v_fma_f32 v50, v92, v252, -v3
	v_mul_f32_e32 v3, v133, v255
	v_fma_f32 v108, v144, v56, -v7
	v_fmac_f32_e32 v109, v145, v56
	s_delay_alu instid0(VALU_DEP_3)
	v_fma_f32 v106, v132, v254, -v3
	s_clause 0x2
	global_load_b128 v[59:62], v[68:69], off offset:7424
	global_load_b128 v[91:94], v[68:69], off offset:7408
	;; [unrolled: 1-line block ×3, first 2 shown]
	v_mul_f32_e32 v3, v97, v55
	s_delay_alu instid0(VALU_DEP_1) | instskip(SKIP_1) | instid1(VALU_DEP_1)
	v_fma_f32 v78, v96, v54, -v3
	v_mul_f32_e32 v3, v96, v55
	v_fmac_f32_e32 v3, v97, v54
	s_wait_loadcnt_dscnt 0x109
	v_dual_mul_f32 v102, v146, v62 :: v_dual_mul_f32 v97, v40, v92
	s_wait_loadcnt 0x0
	v_mul_f32_e32 v7, v161, v253
	v_mul_f32_e32 v15, v114, v255
	;; [unrolled: 1-line block ×3, first 2 shown]
	scratch_store_b128 off, v[252:255], off offset:676 ; 16-byte Folded Spill
	v_fmac_f32_e32 v97, v41, v91
	v_fma_f32 v54, v160, v252, -v7
	v_mul_f32_e32 v7, v115, v255
	s_clause 0x1
	scratch_store_b128 off, v[91:94], off offset:732
	scratch_store_b128 off, v[59:62], off offset:768
	v_fmac_f32_e32 v15, v115, v254
	v_fmac_f32_e32 v14, v135, v93
	v_fma_f32 v90, v114, v254, -v7
	v_dual_mul_f32 v7, v41, v92 :: v_dual_fmac_f32 v102, v147, v61
	v_mul_f32_e32 v51, v160, v253
	s_delay_alu instid0(VALU_DEP_2) | instskip(SKIP_1) | instid1(VALU_DEP_3)
	v_fma_f32 v96, v40, v91, -v7
	v_mul_f32_e32 v7, v135, v94
	v_fmac_f32_e32 v51, v161, v252
	s_delay_alu instid0(VALU_DEP_2) | instskip(SKIP_2) | instid1(VALU_DEP_1)
	v_fma_f32 v41, v134, v93, -v7
	s_wait_dscnt 0x8
	v_mul_f32_e32 v7, v37, v60
	v_fma_f32 v40, v36, v59, -v7
	v_dual_mul_f32 v7, v36, v60 :: v_dual_mul_f32 v36, v147, v62
	s_delay_alu instid0(VALU_DEP_1) | instskip(NEXT) | instid1(VALU_DEP_2)
	v_fmac_f32_e32 v7, v37, v59
	v_fma_f32 v36, v146, v61, -v36
	s_clause 0x2
	global_load_b128 v[91:94], v[68:69], off offset:9776
	global_load_b128 v[112:115], v[68:69], off offset:9760
	;; [unrolled: 1-line block ×3, first 2 shown]
	s_wait_loadcnt 0x2
	v_mul_f32_e32 v254, v38, v92
	s_wait_loadcnt_dscnt 0x5
	v_dual_mul_f32 v252, v28, v115 :: v_dual_mul_f32 v37, v163, v60
	v_mul_f32_e32 v56, v32, v62
	s_clause 0x2
	scratch_store_b128 off, v[59:62], off offset:784
	scratch_store_b128 off, v[112:115], off offset:800
	;; [unrolled: 1-line block ×3, first 2 shown]
	v_fma_f32 v57, v162, v59, -v37
	v_mul_f32_e32 v37, v33, v62
	v_fmac_f32_e32 v56, v33, v61
	v_mul_f32_e32 v62, v42, v113
	v_fmac_f32_e32 v252, v29, v114
	v_fmac_f32_e32 v254, v39, v91
	v_fma_f32 v37, v32, v61, -v37
	v_mul_f32_e32 v32, v43, v113
	v_fmac_f32_e32 v62, v43, v112
	v_mul_f32_e32 v60, v162, v60
	s_delay_alu instid0(VALU_DEP_3) | instskip(SKIP_1) | instid1(VALU_DEP_3)
	v_fma_f32 v61, v42, v112, -v32
	v_mul_f32_e32 v32, v29, v115
	v_fmac_f32_e32 v60, v163, v59
	s_delay_alu instid0(VALU_DEP_2) | instskip(SKIP_3) | instid1(VALU_DEP_2)
	v_fma_f32 v63, v28, v114, -v32
	v_mul_f32_e32 v28, v39, v92
	s_wait_dscnt 0x4
	v_mul_f32_e32 v32, v24, v94
	v_fma_f32 v253, v38, v91, -v28
	v_mul_f32_e32 v28, v25, v94
	s_delay_alu instid0(VALU_DEP_3) | instskip(NEXT) | instid1(VALU_DEP_2)
	v_fmac_f32_e32 v32, v25, v93
	v_fma_f32 v255, v24, v93, -v28
	s_clause 0x2
	global_load_b128 v[91:94], v[68:69], off offset:12128
	global_load_b128 v[112:115], v[68:69], off offset:12112
	;; [unrolled: 1-line block ×3, first 2 shown]
	s_wait_loadcnt 0x2
	scratch_store_b128 off, v[91:94], off offset:888 ; 16-byte Folded Spill
	s_wait_loadcnt_dscnt 0x102
	v_mul_f32_e32 v59, v16, v113
	s_wait_loadcnt 0x0
	v_mul_f32_e32 v24, v21, v133
	v_mul_f32_e32 v55, v20, v133
	;; [unrolled: 1-line block ×3, first 2 shown]
	v_fmac_f32_e32 v59, v17, v112
	s_delay_alu instid0(VALU_DEP_4) | instskip(NEXT) | instid1(VALU_DEP_4)
	v_fma_f32 v121, v20, v132, -v24
	v_dual_mul_f32 v20, v35, v135 :: v_dual_fmac_f32 v55, v21, v132
	v_mul_f32_e32 v24, v26, v94
	v_fmac_f32_e32 v243, v35, v134
	s_delay_alu instid0(VALU_DEP_3) | instskip(SKIP_1) | instid1(VALU_DEP_4)
	v_fma_f32 v33, v34, v134, -v20
	v_mul_f32_e32 v20, v17, v113
	v_dual_fmac_f32 v24, v27, v93 :: v_dual_add_f32 v17, v80, v84
	s_delay_alu instid0(VALU_DEP_2) | instskip(SKIP_2) | instid1(VALU_DEP_2)
	v_fma_f32 v21, v16, v112, -v20
	v_mul_f32_e32 v16, v31, v115
	v_sub_f32_e32 v20, v81, v85
	v_fma_f32 v25, v30, v114, -v16
	v_mul_f32_e32 v30, v30, v115
	s_wait_dscnt 0x1
	v_mul_f32_e32 v16, v9, v92
	s_delay_alu instid0(VALU_DEP_2) | instskip(NEXT) | instid1(VALU_DEP_2)
	v_fmac_f32_e32 v30, v31, v114
	v_fma_f32 v31, v8, v91, -v16
	v_mul_f32_e32 v8, v8, v92
	v_sub_f32_e32 v16, v65, v89
	s_delay_alu instid0(VALU_DEP_2) | instskip(NEXT) | instid1(VALU_DEP_1)
	v_dual_fmac_f32 v8, v9, v91 :: v_dual_mul_f32 v9, v27, v94
	v_fma_f32 v101, v26, v93, -v9
	s_clause 0x2
	global_load_b128 v[26:29], v[68:69], off offset:14480
	global_load_b128 v[144:147], v[68:69], off offset:14464
	;; [unrolled: 1-line block ×3, first 2 shown]
	s_wait_loadcnt 0x2
	v_mul_f32_e32 v91, v10, v27
	s_wait_loadcnt 0x1
	v_mul_f32_e32 v87, v18, v145
	;; [unrolled: 2-line block ×3, first 2 shown]
	v_mul_f32_e32 v83, v12, v163
	v_mul_f32_e32 v79, v22, v161
	scratch_store_b128 off, v[26:29], off offset:928 ; 16-byte Folded Spill
	v_fmac_f32_e32 v87, v19, v144
	v_fma_f32 v71, v22, v160, -v9
	v_mul_f32_e32 v9, v13, v163
	v_fmac_f32_e32 v83, v13, v162
	v_dual_fmac_f32 v91, v11, v26 :: v_dual_add_f32 v22, v66, v76
	v_fmac_f32_e32 v79, v23, v160
	s_delay_alu instid0(VALU_DEP_4) | instskip(SKIP_4) | instid1(VALU_DEP_2)
	v_fma_f32 v9, v12, v162, -v9
	v_dual_mul_f32 v12, v4, v147 :: v_dual_add_f32 v23, v67, v77
	scratch_store_b32 off, v9, off offset:968 ; 4-byte Folded Spill
	v_dual_mul_f32 v9, v19, v145 :: v_dual_fmac_f32 v12, v5, v146
	v_sub_f32_e32 v19, v80, v84
	v_fma_f32 v126, v18, v144, -v9
	v_mul_f32_e32 v9, v5, v147
	v_add_f32_e32 v18, v81, v85
	s_delay_alu instid0(VALU_DEP_2)
	v_fma_f32 v9, v4, v146, -v9
	v_dual_mul_f32 v4, v11, v27 :: v_dual_sub_f32 v11, v64, v88
	v_sub_f32_e32 v27, v77, v67
	scratch_store_b32 off, v9, off offset:960 ; 4-byte Folded Spill
	v_fma_f32 v13, v10, v26, -v4
	s_wait_dscnt 0x0
	v_dual_mul_f32 v4, v45, v29 :: v_dual_add_f32 v9, v64, v88
	v_add_f32_e32 v10, v65, v89
	v_dual_sub_f32 v26, v76, v66 :: v_dual_sub_f32 v43, v27, v20
	s_delay_alu instid0(VALU_DEP_3) | instskip(NEXT) | instid1(VALU_DEP_3)
	v_fma_f32 v5, v44, v28, -v4
	v_dual_mul_f32 v4, v44, v29 :: v_dual_add_f32 v29, v18, v10
	v_sub_f32_e32 v34, v17, v9
	v_sub_f32_e32 v38, v9, v22
	s_delay_alu instid0(VALU_DEP_3) | instskip(SKIP_4) | instid1(VALU_DEP_4)
	v_dual_sub_f32 v35, v18, v10 :: v_dual_fmac_f32 v4, v45, v28
	v_add_f32_e32 v28, v17, v9
	v_sub_f32_e32 v17, v22, v17
	v_add_f32_e32 v9, v26, v19
	v_dual_sub_f32 v39, v10, v23 :: v_dual_sub_f32 v18, v23, v18
	v_add_f32_e32 v22, v22, v28
	v_add_f32_e32 v10, v27, v20
	v_sub_f32_e32 v42, v26, v19
	v_sub_f32_e32 v26, v11, v26
	;; [unrolled: 1-line block ×3, first 2 shown]
	v_add_f32_e32 v23, v23, v29
	v_add_f32_e32 v11, v9, v11
	;; [unrolled: 1-line block ×3, first 2 shown]
	v_sub_f32_e32 v27, v16, v27
	v_sub_f32_e32 v20, v20, v16
	v_add_f32_e32 v16, v10, v16
	v_add_f32_e32 v10, v23, v47
	v_mov_b32_e32 v46, v9
	v_dual_mul_f32 v28, 0x3f4a47b2, v38 :: v_dual_mul_f32 v29, 0x3f4a47b2, v39
	v_mul_f32_e32 v38, 0x3d64c772, v17
	v_mul_f32_e32 v42, 0xbf08b237, v42
	s_delay_alu instid0(VALU_DEP_4) | instskip(SKIP_3) | instid1(VALU_DEP_3)
	v_fmac_f32_e32 v46, 0xbf955555, v22
	v_dual_mov_b32 v22, v10 :: v_dual_mul_f32 v39, 0x3d64c772, v18
	v_dual_mul_f32 v44, 0xbf5ff5aa, v19 :: v_dual_mul_f32 v45, 0xbf5ff5aa, v20
	v_fmamk_f32 v17, v17, 0x3d64c772, v28
	v_fmac_f32_e32 v22, 0xbf955555, v23
	v_fmamk_f32 v18, v18, 0x3d64c772, v29
	v_fma_f32 v23, 0x3f3bfb3b, v34, -v38
	v_fma_f32 v28, 0xbf3bfb3b, v34, -v28
	v_fmamk_f32 v34, v26, 0x3eae86e6, v42
	v_mul_f32_e32 v43, 0xbf08b237, v43
	v_fma_f32 v38, 0x3f3bfb3b, v35, -v39
	v_fma_f32 v29, 0xbf3bfb3b, v35, -v29
	;; [unrolled: 1-line block ×3, first 2 shown]
	v_dual_fmac_f32 v44, 0xbeae86e6, v26 :: v_dual_fmac_f32 v45, 0xbeae86e6, v27
	v_add_f32_e32 v18, v18, v22
	v_fmac_f32_e32 v34, 0x3ee1c552, v11
	v_fmamk_f32 v35, v27, 0x3eae86e6, v43
	v_fma_f32 v20, 0x3f5ff5aa, v20, -v43
	v_add_f32_e32 v26, v38, v22
	v_add_f32_e32 v27, v28, v46
	v_dual_add_f32 v22, v29, v22 :: v_dual_fmac_f32 v19, 0x3ee1c552, v11
	v_dual_fmac_f32 v44, 0x3ee1c552, v11 :: v_dual_fmac_f32 v45, 0x3ee1c552, v16
	v_sub_f32_e32 v77, v18, v34
	v_add_f32_e32 v95, v34, v18
	v_add_f32_e32 v11, v104, v58
	;; [unrolled: 1-line block ×4, first 2 shown]
	v_fmac_f32_e32 v35, 0x3ee1c552, v16
	v_fmac_f32_e32 v20, 0x3ee1c552, v16
	v_dual_add_f32 v80, v45, v27 :: v_dual_sub_f32 v81, v22, v44
	v_add_f32_e32 v85, v19, v26
	v_dual_sub_f32 v89, v26, v19 :: v_dual_sub_f32 v92, v27, v45
	v_dual_add_f32 v93, v44, v22 :: v_dual_add_f32 v16, v105, v0
	v_add_f32_e32 v19, v111, v1
	v_dual_add_f32 v22, v99, v242 :: v_dual_add_f32 v27, v18, v11
	v_dual_add_f32 v17, v17, v46 :: v_dual_sub_f32 v84, v23, v20
	v_add_f32_e32 v88, v20, v23
	s_delay_alu instid0(VALU_DEP_4)
	v_dual_add_f32 v23, v100, v2 :: v_dual_add_f32 v28, v19, v16
	v_sub_f32_e32 v29, v18, v11
	v_sub_f32_e32 v11, v11, v22
	;; [unrolled: 1-line block ×3, first 2 shown]
	v_add_f32_e32 v22, v22, v27
	v_add_f32_e32 v76, v35, v17
	v_dual_sub_f32 v94, v17, v35 :: v_dual_sub_f32 v17, v104, v58
	v_sub_f32_e32 v20, v110, v86
	v_sub_f32_e32 v26, v242, v99
	;; [unrolled: 1-line block ×5, first 2 shown]
	v_add_f32_e32 v23, v23, v28
	v_add_f32_e32 v42, v22, v48
	v_dual_sub_f32 v0, v105, v0 :: v_dual_sub_f32 v1, v111, v1
	v_sub_f32_e32 v2, v2, v100
	v_add_f32_e32 v35, v26, v20
	v_dual_sub_f32 v39, v26, v20 :: v_dual_sub_f32 v20, v20, v17
	v_add_f32_e32 v43, v23, v49
	v_mov_b32_e32 v45, v42
	v_add_f32_e32 v38, v2, v1
	v_sub_f32_e32 v44, v2, v1
	v_sub_f32_e32 v26, v17, v26
	;; [unrolled: 1-line block ×3, first 2 shown]
	v_dual_add_f32 v17, v35, v17 :: v_dual_mul_f32 v16, 0x3f4a47b2, v16
	v_mul_f32_e32 v35, 0xbf08b237, v39
	v_mul_f32_e32 v39, 0xbf5ff5aa, v20
	v_dual_fmac_f32 v45, 0xbf955555, v22 :: v_dual_mov_b32 v22, v43
	v_sub_f32_e32 v2, v0, v2
	v_dual_add_f32 v0, v38, v0 :: v_dual_mul_f32 v11, 0x3f4a47b2, v11
	v_dual_mul_f32 v27, 0x3d64c772, v18 :: v_dual_mul_f32 v28, 0x3d64c772, v19
	v_mul_f32_e32 v38, 0xbf08b237, v44
	v_mul_f32_e32 v44, 0xbf5ff5aa, v1
	v_fmac_f32_e32 v22, 0xbf955555, v23
	v_fmamk_f32 v19, v19, 0x3d64c772, v16
	v_fma_f32 v16, 0xbf3bfb3b, v34, -v16
	v_fmac_f32_e32 v39, 0xbeae86e6, v26
	v_fmamk_f32 v18, v18, 0x3d64c772, v11
	v_fma_f32 v23, 0x3f3bfb3b, v29, -v27
	v_fma_f32 v11, 0xbf3bfb3b, v29, -v11
	v_fmamk_f32 v29, v2, 0x3eae86e6, v38
	v_fma_f32 v1, 0x3f5ff5aa, v1, -v38
	v_fmac_f32_e32 v44, 0xbeae86e6, v2
	v_dual_add_f32 v16, v16, v22 :: v_dual_fmac_f32 v39, 0x3ee1c552, v17
	v_fma_f32 v27, 0x3f3bfb3b, v34, -v28
	v_add_f32_e32 v2, v18, v45
	v_add_f32_e32 v18, v19, v22
	;; [unrolled: 1-line block ×3, first 2 shown]
	v_fmac_f32_e32 v29, 0x3ee1c552, v0
	v_fmac_f32_e32 v1, 0x3ee1c552, v0
	v_dual_fmac_f32 v44, 0x3ee1c552, v0 :: v_dual_sub_f32 v23, v16, v39
	v_add_f32_e32 v70, v39, v16
	v_add_f32_e32 v0, v103, v108
	;; [unrolled: 1-line block ×3, first 2 shown]
	v_fmamk_f32 v28, v26, 0x3eae86e6, v35
	v_fma_f32 v20, 0x3f5ff5aa, v20, -v35
	v_add_f32_e32 v26, v27, v22
	v_dual_sub_f32 v99, v19, v1 :: v_dual_add_f32 v104, v1, v19
	v_add_f32_e32 v19, v50, v106
	v_dual_add_f32 v27, v16, v0 :: v_dual_fmac_f32 v28, 0x3ee1c552, v17
	v_dual_fmac_f32 v20, 0x3ee1c552, v17 :: v_dual_add_f32 v17, v53, v3
	v_sub_f32_e32 v34, v16, v0
	s_delay_alu instid0(VALU_DEP_4)
	v_sub_f32_e32 v0, v0, v19
	v_sub_f32_e32 v16, v19, v16
	v_add_f32_e32 v19, v19, v27
	v_add_f32_e32 v1, v82, v109
	v_dual_sub_f32 v111, v18, v28 :: v_dual_add_f32 v100, v20, v26
	v_dual_sub_f32 v105, v26, v20 :: v_dual_add_f32 v68, v28, v18
	v_sub_f32_e32 v18, v52, v78
	v_add_f32_e32 v20, v6, v107
	v_sub_f32_e32 v26, v106, v50
	v_add_f32_e32 v28, v17, v1
	v_dual_add_f32 v11, v11, v45 :: v_dual_add_f32 v110, v29, v2
	v_dual_sub_f32 v67, v2, v29 :: v_dual_sub_f32 v2, v103, v108
	v_sub_f32_e32 v35, v17, v1
	v_sub_f32_e32 v1, v1, v20
	;; [unrolled: 1-line block ×3, first 2 shown]
	v_dual_add_f32 v29, v26, v18 :: v_dual_add_f32 v20, v20, v28
	v_dual_add_f32 v22, v44, v11 :: v_dual_sub_f32 v69, v11, v44
	v_sub_f32_e32 v11, v82, v109
	v_sub_f32_e32 v3, v53, v3
	;; [unrolled: 1-line block ×5, first 2 shown]
	v_add_f32_e32 v2, v29, v2
	v_dual_add_f32 v28, v19, v248 :: v_dual_add_f32 v29, v20, v249
	v_sub_f32_e32 v6, v107, v6
	v_dual_mul_f32 v0, 0x3f4a47b2, v0 :: v_dual_mul_f32 v1, 0x3f4a47b2, v1
	s_delay_alu instid0(VALU_DEP_3) | instskip(NEXT) | instid1(VALU_DEP_3)
	v_dual_mov_b32 v46, v28 :: v_dual_mul_f32 v27, 0x3d64c772, v16
	v_add_f32_e32 v38, v6, v3
	v_sub_f32_e32 v44, v6, v3
	v_sub_f32_e32 v3, v3, v11
	;; [unrolled: 1-line block ×3, first 2 shown]
	v_fmac_f32_e32 v46, 0xbf955555, v19
	v_dual_add_f32 v11, v38, v11 :: v_dual_mul_f32 v38, 0x3d64c772, v17
	v_mul_f32_e32 v44, 0xbf08b237, v44
	v_dual_mul_f32 v50, 0xbf5ff5aa, v3 :: v_dual_mov_b32 v19, v29
	v_mul_f32_e32 v39, 0xbf08b237, v39
	v_mul_f32_e32 v45, 0xbf5ff5aa, v18
	v_dual_fmamk_f32 v16, v16, 0x3d64c772, v0 :: v_dual_fmamk_f32 v17, v17, 0x3d64c772, v1
	s_delay_alu instid0(VALU_DEP_4)
	v_fmac_f32_e32 v19, 0xbf955555, v20
	v_fma_f32 v20, 0x3f3bfb3b, v34, -v27
	v_fma_f32 v27, 0x3f3bfb3b, v35, -v38
	;; [unrolled: 1-line block ×4, first 2 shown]
	v_fmamk_f32 v35, v6, 0x3eae86e6, v44
	v_fmac_f32_e32 v50, 0xbeae86e6, v6
	v_fmamk_f32 v34, v26, 0x3eae86e6, v39
	v_fma_f32 v18, 0x3f5ff5aa, v18, -v39
	v_fmac_f32_e32 v45, 0xbeae86e6, v26
	v_add_f32_e32 v6, v16, v46
	v_dual_add_f32 v0, v0, v46 :: v_dual_fmac_f32 v35, 0x3ee1c552, v11
	v_fmac_f32_e32 v50, 0x3ee1c552, v11
	v_fma_f32 v3, 0x3f5ff5aa, v3, -v44
	v_dual_add_f32 v16, v17, v19 :: v_dual_add_f32 v17, v20, v46
	v_add_f32_e32 v20, v27, v19
	v_dual_add_f32 v1, v1, v19 :: v_dual_fmac_f32 v34, 0x3ee1c552, v2
	v_fmac_f32_e32 v18, 0x3ee1c552, v2
	v_fmac_f32_e32 v45, 0x3ee1c552, v2
	v_add_f32_e32 v52, v35, v6
	v_add_f32_e32 v48, v50, v0
	v_dual_sub_f32 v38, v0, v50 :: v_dual_sub_f32 v19, v6, v35
	v_add_f32_e32 v0, v54, v36
	v_dual_add_f32 v6, v90, v40 :: v_dual_fmac_f32 v3, 0x3ee1c552, v11
	v_sub_f32_e32 v53, v16, v34
	v_sub_f32_e32 v49, v1, v45
	v_dual_add_f32 v47, v18, v20 :: v_dual_sub_f32 v18, v20, v18
	v_dual_add_f32 v39, v45, v1 :: v_dual_add_f32 v20, v34, v16
	v_add_f32_e32 v1, v51, v102
	v_add_f32_e32 v11, v15, v7
	v_sub_f32_e32 v7, v15, v7
	v_dual_add_f32 v15, v96, v41 :: v_dual_add_f32 v34, v6, v0
	v_sub_f32_e32 v2, v54, v36
	v_sub_f32_e32 v16, v90, v40
	v_add_f32_e32 v26, v97, v14
	v_sub_f32_e32 v27, v41, v96
	v_dual_add_f32 v35, v11, v1 :: v_dual_sub_f32 v36, v6, v0
	v_sub_f32_e32 v0, v0, v15
	v_sub_f32_e32 v6, v15, v6
	v_dual_add_f32 v15, v15, v34 :: v_dual_sub_f32 v46, v17, v3
	v_add_f32_e32 v17, v3, v17
	v_dual_sub_f32 v3, v51, v102 :: v_dual_sub_f32 v14, v14, v97
	v_dual_sub_f32 v40, v11, v1 :: v_dual_sub_f32 v1, v1, v26
	v_sub_f32_e32 v11, v26, v11
	v_add_f32_e32 v41, v27, v16
	v_dual_sub_f32 v45, v27, v16 :: v_dual_add_f32 v26, v26, v35
	v_add_f32_e32 v250, v15, v250
	v_add_f32_e32 v44, v14, v7
	v_sub_f32_e32 v50, v14, v7
	v_dual_sub_f32 v27, v2, v27 :: v_dual_sub_f32 v16, v16, v2
	v_dual_sub_f32 v7, v7, v3 :: v_dual_add_f32 v2, v41, v2
	v_add_f32_e32 v251, v26, v251
	v_mul_f32_e32 v41, 0xbf08b237, v45
	v_dual_mov_b32 v45, v250 :: v_dual_sub_f32 v14, v3, v14
	v_dual_add_f32 v3, v44, v3 :: v_dual_mul_f32 v0, 0x3f4a47b2, v0
	v_dual_mul_f32 v34, 0x3d64c772, v6 :: v_dual_mul_f32 v35, 0x3d64c772, v11
	v_mul_f32_e32 v44, 0xbf08b237, v50
	v_mul_f32_e32 v58, 0xbf5ff5aa, v7
	v_fmac_f32_e32 v45, 0xbf955555, v15
	v_mov_b32_e32 v15, v251
	v_mul_f32_e32 v1, 0x3f4a47b2, v1
	v_mul_f32_e32 v54, 0xbf5ff5aa, v16
	v_fmamk_f32 v6, v6, 0x3d64c772, v0
	v_fma_f32 v0, 0xbf3bfb3b, v36, -v0
	v_fmac_f32_e32 v15, 0xbf955555, v26
	v_fma_f32 v26, 0x3f3bfb3b, v36, -v34
	v_fma_f32 v34, 0x3f3bfb3b, v40, -v35
	v_fmamk_f32 v64, v14, 0x3eae86e6, v44
	v_fma_f32 v16, 0x3f5ff5aa, v16, -v41
	v_fmac_f32_e32 v58, 0xbeae86e6, v14
	v_fmamk_f32 v11, v11, 0x3d64c772, v1
	v_fma_f32 v1, 0xbf3bfb3b, v40, -v1
	v_fmamk_f32 v36, v27, 0x3eae86e6, v41
	v_fma_f32 v7, 0x3f5ff5aa, v7, -v44
	v_fmac_f32_e32 v54, 0xbeae86e6, v27
	v_add_f32_e32 v6, v6, v45
	v_add_f32_e32 v14, v26, v45
	;; [unrolled: 1-line block ×4, first 2 shown]
	v_fmac_f32_e32 v64, 0x3ee1c552, v3
	v_fmac_f32_e32 v16, 0x3ee1c552, v2
	;; [unrolled: 1-line block ×3, first 2 shown]
	v_add_f32_e32 v11, v11, v15
	v_dual_add_f32 v1, v1, v15 :: v_dual_fmac_f32 v36, 0x3ee1c552, v2
	v_dual_fmac_f32 v7, 0x3ee1c552, v3 :: v_dual_fmac_f32 v54, 0x3ee1c552, v2
	v_add_f32_e32 v50, v64, v6
	v_dual_add_f32 v44, v58, v0 :: v_dual_add_f32 v35, v16, v26
	v_dual_sub_f32 v41, v26, v16 :: v_dual_sub_f32 v96, v0, v58
	v_sub_f32_e32 v26, v6, v64
	v_add_f32_e32 v0, v57, v255
	v_dual_add_f32 v6, v37, v253 :: v_dual_sub_f32 v51, v11, v36
	v_dual_sub_f32 v45, v1, v54 :: v_dual_sub_f32 v34, v14, v7
	v_dual_add_f32 v40, v7, v14 :: v_dual_add_f32 v97, v54, v1
	v_add_f32_e32 v27, v36, v11
	v_add_f32_e32 v1, v60, v32
	v_sub_f32_e32 v3, v60, v32
	v_add_f32_e32 v7, v56, v254
	v_sub_f32_e32 v11, v37, v253
	v_dual_add_f32 v15, v61, v63 :: v_dual_sub_f32 v32, v63, v61
	v_dual_add_f32 v37, v6, v0 :: v_dual_sub_f32 v2, v57, v255
	v_sub_f32_e32 v14, v56, v254
	v_add_f32_e32 v16, v62, v252
	v_sub_f32_e32 v36, v252, v62
	v_add_f32_e32 v54, v7, v1
	v_sub_f32_e32 v58, v6, v0
	v_sub_f32_e32 v0, v0, v15
	;; [unrolled: 1-line block ×3, first 2 shown]
	v_dual_add_f32 v56, v32, v11 :: v_dual_add_f32 v15, v15, v37
	v_dual_sub_f32 v60, v7, v1 :: v_dual_sub_f32 v1, v1, v16
	v_sub_f32_e32 v7, v16, v7
	v_add_f32_e32 v57, v36, v14
	v_dual_sub_f32 v61, v32, v11 :: v_dual_sub_f32 v32, v2, v32
	v_sub_f32_e32 v11, v11, v2
	v_add_f32_e32 v16, v16, v54
	v_add_f32_e32 v2, v56, v2
	;; [unrolled: 1-line block ×3, first 2 shown]
	v_sub_f32_e32 v62, v36, v14
	v_sub_f32_e32 v36, v3, v36
	;; [unrolled: 1-line block ×3, first 2 shown]
	v_add_f32_e32 v3, v57, v3
	v_add_f32_e32 v57, v16, v245
	v_dual_mov_b32 v65, v56 :: v_dual_mul_f32 v0, 0x3f4a47b2, v0
	v_mul_f32_e32 v37, 0x3d64c772, v6
	v_mul_f32_e32 v62, 0xbf08b237, v62
	;; [unrolled: 1-line block ×3, first 2 shown]
	s_delay_alu instid0(VALU_DEP_4)
	v_fmac_f32_e32 v65, 0xbf955555, v15
	v_mov_b32_e32 v15, v57
	v_mul_f32_e32 v1, 0x3f4a47b2, v1
	v_mul_f32_e32 v54, 0x3d64c772, v7
	;; [unrolled: 1-line block ×4, first 2 shown]
	v_fmac_f32_e32 v15, 0xbf955555, v16
	v_fmamk_f32 v6, v6, 0x3d64c772, v0
	v_fma_f32 v16, 0x3f3bfb3b, v58, -v37
	v_fma_f32 v0, 0xbf3bfb3b, v58, -v0
	v_fmamk_f32 v58, v36, 0x3eae86e6, v62
	v_fmac_f32_e32 v64, 0xbeae86e6, v36
	v_fmamk_f32 v7, v7, 0x3d64c772, v1
	v_fma_f32 v37, 0x3f3bfb3b, v60, -v54
	v_fma_f32 v1, 0xbf3bfb3b, v60, -v1
	v_fmamk_f32 v54, v32, 0x3eae86e6, v61
	v_fma_f32 v11, 0x3f5ff5aa, v11, -v61
	v_fma_f32 v14, 0x3f5ff5aa, v14, -v62
	v_dual_fmac_f32 v63, 0xbeae86e6, v32 :: v_dual_add_f32 v6, v6, v65
	v_add_f32_e32 v0, v0, v65
	v_fmac_f32_e32 v58, 0x3ee1c552, v3
	v_fmac_f32_e32 v64, 0x3ee1c552, v3
	v_dual_add_f32 v7, v7, v15 :: v_dual_add_f32 v32, v16, v65
	v_add_f32_e32 v36, v37, v15
	v_dual_add_f32 v1, v1, v15 :: v_dual_fmac_f32 v54, 0x3ee1c552, v2
	v_dual_fmac_f32 v11, 0x3ee1c552, v2 :: v_dual_fmac_f32 v14, 0x3ee1c552, v3
	v_fmac_f32_e32 v63, 0x3ee1c552, v2
	v_dual_add_f32 v15, v58, v6 :: v_dual_add_f32 v254, v64, v0
	v_sub_f32_e32 v62, v0, v64
	v_sub_f32_e32 v60, v6, v58
	v_add_f32_e32 v0, v121, v101
	v_add_f32_e32 v6, v33, v31
	v_dual_sub_f32 v16, v7, v54 :: v_dual_sub_f32 v255, v1, v63
	v_dual_sub_f32 v252, v32, v14 :: v_dual_add_f32 v253, v11, v36
	v_dual_add_f32 v248, v14, v32 :: v_dual_sub_f32 v249, v36, v11
	v_add_f32_e32 v63, v63, v1
	v_add_f32_e32 v61, v54, v7
	;; [unrolled: 1-line block ×3, first 2 shown]
	v_sub_f32_e32 v3, v55, v24
	v_add_f32_e32 v7, v243, v8
	v_sub_f32_e32 v11, v33, v31
	v_add_f32_e32 v14, v21, v25
	v_dual_add_f32 v24, v59, v30 :: v_dual_sub_f32 v21, v25, v21
	v_sub_f32_e32 v25, v30, v59
	v_add_f32_e32 v30, v6, v0
	v_sub_f32_e32 v2, v121, v101
	v_sub_f32_e32 v8, v243, v8
	v_dual_add_f32 v31, v7, v1 :: v_dual_sub_f32 v32, v6, v0
	v_sub_f32_e32 v36, v0, v14
	v_sub_f32_e32 v6, v14, v6
	v_add_f32_e32 v0, v21, v11
	v_dual_add_f32 v14, v14, v30 :: v_dual_sub_f32 v33, v7, v1
	v_sub_f32_e32 v37, v1, v24
	v_sub_f32_e32 v7, v24, v7
	v_add_f32_e32 v1, v25, v8
	v_dual_sub_f32 v54, v21, v11 :: v_dual_sub_f32 v21, v2, v21
	v_dual_sub_f32 v11, v11, v2 :: v_dual_add_f32 v24, v24, v31
	v_add_f32_e32 v2, v0, v2
	v_dual_add_f32 v0, v14, v246 :: v_dual_sub_f32 v55, v25, v8
	v_dual_sub_f32 v25, v3, v25 :: v_dual_sub_f32 v8, v8, v3
	v_add_f32_e32 v3, v1, v3
	v_add_f32_e32 v1, v24, v247
	s_delay_alu instid0(VALU_DEP_4) | instskip(SKIP_3) | instid1(VALU_DEP_4)
	v_mov_b32_e32 v64, v0
	v_dual_mul_f32 v30, 0x3f4a47b2, v36 :: v_dual_mul_f32 v31, 0x3f4a47b2, v37
	v_mul_f32_e32 v36, 0x3d64c772, v6
	v_mul_f32_e32 v54, 0xbf08b237, v54
	v_fmac_f32_e32 v64, 0xbf955555, v14
	v_dual_mov_b32 v14, v1 :: v_dual_mul_f32 v37, 0x3d64c772, v7
	v_mul_f32_e32 v55, 0xbf08b237, v55
	v_mul_f32_e32 v58, 0xbf5ff5aa, v8
	v_fmamk_f32 v6, v6, 0x3d64c772, v30
	s_delay_alu instid0(VALU_DEP_4)
	v_fmac_f32_e32 v14, 0xbf955555, v24
	v_fmamk_f32 v7, v7, 0x3d64c772, v31
	v_fma_f32 v24, 0x3f3bfb3b, v32, -v36
	v_fma_f32 v30, 0xbf3bfb3b, v32, -v30
	v_fmamk_f32 v32, v21, 0x3eae86e6, v54
	v_fma_f32 v36, 0x3f3bfb3b, v33, -v37
	v_fma_f32 v31, 0xbf3bfb3b, v33, -v31
	v_fmamk_f32 v33, v25, 0x3eae86e6, v55
	v_dual_fmac_f32 v58, 0xbeae86e6, v25 :: v_dual_add_f32 v25, v7, v14
	v_fmac_f32_e32 v32, 0x3ee1c552, v2
	scratch_load_b32 v121, off, off offset:968 th:TH_LOAD_LU ; 4-byte Folded Reload
	v_fma_f32 v8, 0x3f5ff5aa, v8, -v55
	v_mul_f32_e32 v59, 0xbf5ff5aa, v11
	v_fma_f32 v11, 0x3f5ff5aa, v11, -v54
	v_sub_f32_e32 v7, v25, v32
	v_add_f32_e32 v55, v32, v25
	scratch_load_b32 v25, off, off offset:960 th:TH_LOAD_LU ; 4-byte Folded Reload
	v_dual_fmac_f32 v59, 0xbeae86e6, v21 :: v_dual_add_f32 v24, v24, v64
	v_dual_fmac_f32 v8, 0x3ee1c552, v3 :: v_dual_add_f32 v21, v6, v64
	v_add_f32_e32 v36, v36, v14
	v_dual_add_f32 v30, v30, v64 :: v_dual_fmac_f32 v33, 0x3ee1c552, v3
	v_fmac_f32_e32 v11, 0x3ee1c552, v2
	v_dual_fmac_f32 v59, 0x3ee1c552, v2 :: v_dual_fmac_f32 v58, 0x3ee1c552, v3
	v_sub_f32_e32 v244, v24, v8
	v_add_f32_e32 v242, v8, v24
	v_add_f32_e32 v2, v71, v5
	;; [unrolled: 1-line block ×3, first 2 shown]
	v_dual_add_f32 v246, v58, v30 :: v_dual_add_f32 v245, v11, v36
	v_dual_sub_f32 v243, v36, v11 :: v_dual_sub_f32 v58, v30, v58
	v_dual_sub_f32 v54, v21, v33 :: v_dual_add_f32 v3, v79, v4
	v_add_f32_e32 v11, v83, v91
	v_add_f32_e32 v14, v31, v14
	;; [unrolled: 1-line block ×3, first 2 shown]
	v_sub_f32_e32 v5, v71, v5
	v_sub_f32_e32 v4, v79, v4
	v_add_f32_e32 v31, v11, v3
	v_sub_f32_e32 v33, v11, v3
	v_sub_f32_e32 v3, v3, v24
	;; [unrolled: 1-line block ×4, first 2 shown]
	v_dual_add_f32 v24, v24, v31 :: v_dual_add_f32 v59, v59, v14
	v_sub_f32_e32 v14, v83, v91
	v_sub_f32_e32 v12, v12, v87
	v_mul_f32_e32 v3, 0x3f4a47b2, v3
	s_delay_alu instid0(VALU_DEP_4)
	v_add_f32_e32 v91, v24, v241
	v_mul_f32_e32 v31, 0x3d64c772, v11
	ds_store_b64 v98, v[76:77] offset:2744
	ds_store_b64 v98, v[80:81] offset:5488
	;; [unrolled: 1-line block ×6, first 2 shown]
	ds_store_2addr_b64 v98, v[9:10], v[42:43] offset1:49
	v_add_f32_e32 v37, v12, v14
	v_dual_sub_f32 v65, v12, v14 :: v_dual_sub_f32 v14, v14, v4
	v_dual_fmamk_f32 v11, v11, 0x3d64c772, v3 :: v_dual_sub_f32 v12, v4, v12
	s_delay_alu instid0(VALU_DEP_2) | instskip(NEXT) | instid1(VALU_DEP_3)
	v_dual_add_f32 v4, v37, v4 :: v_dual_mul_f32 v37, 0xbf08b237, v65
	v_mul_f32_e32 v65, 0xbf5ff5aa, v14
	v_fma_f32 v3, 0xbf3bfb3b, v33, -v3
	v_add_nc_u32_e32 v43, 0x1400, v98
	v_add_nc_u32_e32 v42, 0x3400, v98
	v_fma_f32 v14, 0x3f5ff5aa, v14, -v37
	v_fmac_f32_e32 v65, 0xbeae86e6, v12
	s_delay_alu instid0(VALU_DEP_2) | instskip(SKIP_1) | instid1(VALU_DEP_2)
	v_fmac_f32_e32 v14, 0x3ee1c552, v4
	s_wait_loadcnt 0x1
	v_dual_fmac_f32 v65, 0x3ee1c552, v4 :: v_dual_add_f32 v8, v121, v13
	v_sub_f32_e32 v13, v121, v13
	v_add_nc_u32_e32 v121, 0x800, v98
	s_wait_loadcnt 0x0
	s_delay_alu instid0(VALU_DEP_3) | instskip(SKIP_3) | instid1(VALU_DEP_4)
	v_dual_add_f32 v30, v8, v2 :: v_dual_add_f32 v21, v126, v25
	v_sub_f32_e32 v32, v8, v2
	v_sub_f32_e32 v25, v25, v126
	v_dual_mov_b32 v101, v121 :: v_dual_mov_b32 v126, v120
	v_sub_f32_e32 v2, v2, v21
	v_sub_f32_e32 v8, v21, v8
	v_add_f32_e32 v21, v21, v30
	v_add_f32_e32 v36, v25, v13
	v_sub_f32_e32 v64, v25, v13
	v_sub_f32_e32 v25, v5, v25
	;; [unrolled: 1-line block ×3, first 2 shown]
	s_delay_alu instid0(VALU_DEP_4) | instskip(SKIP_3) | instid1(VALU_DEP_4)
	v_dual_add_f32 v90, v21, v240 :: v_dual_add_f32 v5, v36, v5
	v_mul_f32_e32 v30, 0x3d64c772, v8
	v_mul_f32_e32 v36, 0xbf08b237, v64
	;; [unrolled: 1-line block ×3, first 2 shown]
	v_mov_b32_e32 v66, v90
	v_mul_f32_e32 v64, 0xbf5ff5aa, v13
	s_delay_alu instid0(VALU_DEP_4) | instskip(NEXT) | instid1(VALU_DEP_4)
	v_fma_f32 v13, 0x3f5ff5aa, v13, -v36
	v_fmamk_f32 v8, v8, 0x3d64c772, v2
	s_delay_alu instid0(VALU_DEP_4) | instskip(SKIP_2) | instid1(VALU_DEP_3)
	v_dual_fmac_f32 v66, 0xbf955555, v21 :: v_dual_mov_b32 v21, v91
	v_fma_f32 v2, 0xbf3bfb3b, v32, -v2
	v_fmac_f32_e32 v64, 0xbeae86e6, v25
	v_dual_fmac_f32 v13, 0x3ee1c552, v5 :: v_dual_add_f32 v8, v8, v66
	s_delay_alu instid0(VALU_DEP_4) | instskip(SKIP_3) | instid1(VALU_DEP_3)
	v_fmac_f32_e32 v21, 0xbf955555, v24
	v_fma_f32 v24, 0x3f3bfb3b, v32, -v30
	v_fma_f32 v30, 0x3f3bfb3b, v33, -v31
	v_dual_fmamk_f32 v31, v25, 0x3eae86e6, v36 :: v_dual_fmamk_f32 v32, v12, 0x3eae86e6, v37
	v_dual_add_f32 v11, v11, v21 :: v_dual_add_f32 v12, v24, v66
	s_delay_alu instid0(VALU_DEP_3) | instskip(NEXT) | instid1(VALU_DEP_3)
	v_add_f32_e32 v24, v30, v21
	v_fmac_f32_e32 v31, 0x3ee1c552, v5
	v_add_f32_e32 v21, v3, v21
	v_fmac_f32_e32 v64, 0x3ee1c552, v5
	s_delay_alu instid0(VALU_DEP_4) | instskip(NEXT) | instid1(VALU_DEP_4)
	v_dual_fmac_f32 v32, 0x3ee1c552, v4 :: v_dual_sub_f32 v241, v24, v13
	v_sub_f32_e32 v3, v11, v31
	ds_store_2addr_b64 v43, v[22:23], v[48:49] offset0:95 offset1:144
	v_dual_add_f32 v5, v13, v24 :: v_dual_add_nc_u32 v48, 0x2000, v98
	v_add_f32_e32 v83, v64, v21
	v_add_f32_e32 v79, v31, v11
	ds_store_2addr_b64 v121, v[110:111], v[52:53] offset0:136 offset1:185
	ds_store_2addr_b64 v48, v[99:100], v[46:47] offset0:54 offset1:103
	v_add_nc_u32_e32 v47, 0x2800, v98
	v_add_nc_u32_e32 v49, 0x1800, v98
	v_dual_add_f32 v25, v2, v66 :: v_dual_add_f32 v2, v32, v8
	v_sub_f32_e32 v4, v12, v14
	ds_store_2addr_b64 v47, v[104:105], v[17:18] offset0:141 offset1:190
	ds_store_2addr_b64 v42, v[69:70], v[38:39] offset0:100 offset1:149
	;; [unrolled: 1-line block ×4, first 2 shown]
	v_dual_sub_f32 v78, v8, v32 :: v_dual_add_nc_u32 v39, 0xc00, v98
	v_add_nc_u32_e32 v46, 0x3800, v98
	v_add_nc_u32_e32 v38, 0x2400, v98
	v_add_f32_e32 v86, v65, v25
	ds_store_2addr_b64 v39, v[50:51], v[15:16] offset0:106 offset1:155
	ds_store_2addr_b64 v49, v[44:45], v[254:255] offset0:65 offset1:114
	;; [unrolled: 1-line block ×3, first 2 shown]
	v_add_nc_u32_e32 v44, 0x2c00, v98
	v_add_nc_u32_e32 v45, 0x1000, v98
	v_sub_f32_e32 v87, v21, v64
	v_add_f32_e32 v240, v14, v12
	v_sub_f32_e32 v82, v25, v65
	ds_store_2addr_b64 v44, v[40:41], v[248:249] offset0:111 offset1:160
	v_add_nc_u32_e32 v41, 0x4400, v98
	ds_store_2addr_b64 v46, v[96:97], v[62:63] offset0:70 offset1:119
	ds_store_2addr_b64 v120, v[26:27], v[60:61] offset0:157 offset1:206
	;; [unrolled: 1-line block ×3, first 2 shown]
	ds_store_b64 v98, v[90:91] offset:2352
	ds_store_2addr_b64 v45, v[6:7], v[2:3] offset0:76 offset1:125
	ds_store_2addr_b64 v49, v[246:247], v[86:87] offset0:163 offset1:212
	;; [unrolled: 1-line block ×5, first 2 shown]
	v_add_nc_u32_e32 v40, 0x1c00, v98
	ds_store_2addr_b64 v41, v[54:55], v[78:79] offset0:127 offset1:176
	global_wb scope:SCOPE_SE
	s_wait_storecnt_dscnt 0x0
	s_barrier_signal -1
	s_barrier_wait -1
	global_inv scope:SCOPE_SE
	global_load_b64 v[0:1], v98, s[4:5] offset:19208
	ds_load_2addr_b64 v[12:15], v98 offset1:49
	v_dual_mov_b32 v104, v47 :: v_dual_mov_b32 v105, v49
	v_dual_mov_b32 v106, v45 :: v_dual_mov_b32 v107, v39
	s_mul_u64 s[4:5], s[0:1], 0xab8
	s_wait_loadcnt_dscnt 0x0
	v_mul_f32_e32 v2, v13, v1
	v_mul_f32_e32 v3, v12, v1
	s_delay_alu instid0(VALU_DEP_2) | instskip(NEXT) | instid1(VALU_DEP_2)
	v_fma_f32 v2, v12, v0, -v2
	v_fmac_f32_e32 v3, v13, v0
	global_load_b64 v[0:1], v98, s[16:17] offset:2744
	ds_store_b64 v98, v[2:3]
	ds_load_2addr_b64 v[8:11], v121 offset0:38 offset1:87
	ds_load_2addr_b64 v[16:19], v45 offset0:174 offset1:223
	;; [unrolled: 1-line block ×5, first 2 shown]
	s_wait_loadcnt_dscnt 0x4
	v_mul_f32_e32 v2, v11, v1
	v_mul_f32_e32 v29, v10, v1
	s_delay_alu instid0(VALU_DEP_2) | instskip(NEXT) | instid1(VALU_DEP_2)
	v_fma_f32 v28, v10, v0, -v2
	v_fmac_f32_e32 v29, v11, v0
	global_load_b64 v[0:1], v98, s[16:17] offset:5488
	s_wait_loadcnt_dscnt 0x3
	v_mul_f32_e32 v2, v17, v1
	v_mul_f32_e32 v13, v16, v1
	s_delay_alu instid0(VALU_DEP_2) | instskip(NEXT) | instid1(VALU_DEP_2)
	v_fma_f32 v12, v16, v0, -v2
	v_fmac_f32_e32 v13, v17, v0
	global_load_b64 v[0:1], v98, s[16:17] offset:8232
	s_wait_loadcnt_dscnt 0x2
	v_mul_f32_e32 v2, v7, v1
	v_mul_f32_e32 v31, v6, v1
	s_delay_alu instid0(VALU_DEP_2) | instskip(NEXT) | instid1(VALU_DEP_2)
	v_fma_f32 v30, v6, v0, -v2
	v_fmac_f32_e32 v31, v7, v0
	s_clause 0x1
	global_load_b64 v[0:1], v98, s[16:17] offset:10976
	global_load_b64 v[6:7], v98, s[16:17] offset:13720
	s_wait_loadcnt_dscnt 0x101
	v_mul_f32_e32 v2, v21, v1
	v_mul_f32_e32 v11, v20, v1
	s_delay_alu instid0(VALU_DEP_2) | instskip(NEXT) | instid1(VALU_DEP_2)
	v_fma_f32 v10, v20, v0, -v2
	v_fmac_f32_e32 v11, v21, v0
	ds_load_2addr_b64 v[0:3], v127 offset0:130 offset1:179
	s_wait_loadcnt_dscnt 0x0
	v_mul_f32_e32 v16, v3, v7
	v_mul_f32_e32 v33, v2, v7
	s_delay_alu instid0(VALU_DEP_2) | instskip(NEXT) | instid1(VALU_DEP_2)
	v_fma_f32 v32, v2, v6, -v16
	v_fmac_f32_e32 v33, v3, v6
	global_load_b64 v[2:3], v98, s[16:17] offset:16464
	s_wait_loadcnt 0x0
	v_mul_f32_e32 v6, v25, v3
	v_mul_f32_e32 v7, v24, v3
	s_delay_alu instid0(VALU_DEP_2) | instskip(NEXT) | instid1(VALU_DEP_2)
	v_fma_f32 v6, v24, v2, -v6
	v_fmac_f32_e32 v7, v25, v2
	global_load_b64 v[2:3], v98, s[16:17] offset:392
	s_wait_loadcnt 0x0
	v_mul_f32_e32 v16, v15, v3
	v_mul_f32_e32 v35, v14, v3
	s_delay_alu instid0(VALU_DEP_2) | instskip(NEXT) | instid1(VALU_DEP_2)
	v_fma_f32 v34, v14, v2, -v16
	v_fmac_f32_e32 v35, v15, v2
	global_load_b64 v[2:3], v98, s[16:17] offset:3136
	ds_load_2addr_b64 v[14:17], v121 offset0:136 offset1:185
	s_wait_loadcnt_dscnt 0x0
	v_mul_f32_e32 v20, v15, v3
	v_mul_f32_e32 v21, v14, v3
	s_delay_alu instid0(VALU_DEP_2) | instskip(NEXT) | instid1(VALU_DEP_2)
	v_fma_f32 v20, v14, v2, -v20
	v_fmac_f32_e32 v21, v15, v2
	global_load_b64 v[2:3], v98, s[16:17] offset:5880
	ds_store_2addr_b64 v121, v[28:29], v[20:21] offset0:87 offset1:136
	s_wait_loadcnt 0x0
	v_dual_mov_b32 v121, v48 :: v_dual_mul_f32 v14, v19, v3
	v_mul_f32_e32 v37, v18, v3
	s_delay_alu instid0(VALU_DEP_2) | instskip(NEXT) | instid1(VALU_DEP_2)
	v_fma_f32 v36, v18, v2, -v14
	v_fmac_f32_e32 v37, v19, v2
	global_load_b64 v[2:3], v98, s[16:17] offset:8624
	ds_load_2addr_b64 v[18:21], v48 offset0:54 offset1:103
	s_wait_loadcnt_dscnt 0x0
	v_mul_f32_e32 v14, v19, v3
	v_mul_f32_e32 v15, v18, v3
	s_delay_alu instid0(VALU_DEP_2) | instskip(NEXT) | instid1(VALU_DEP_2)
	v_fma_f32 v14, v18, v2, -v14
	v_fmac_f32_e32 v15, v19, v2
	global_load_b64 v[2:3], v98, s[16:17] offset:11368
	ds_store_2addr_b64 v48, v[30:31], v[14:15] offset0:5 offset1:54
	s_wait_loadcnt 0x0
	v_mul_f32_e32 v14, v23, v3
	v_mul_f32_e32 v31, v22, v3
	s_delay_alu instid0(VALU_DEP_2) | instskip(NEXT) | instid1(VALU_DEP_2)
	v_fma_f32 v30, v22, v2, -v14
	v_fmac_f32_e32 v31, v23, v2
	global_load_b64 v[2:3], v98, s[16:17] offset:14112
	ds_load_2addr_b64 v[22:25], v42 offset0:100 offset1:149
	s_wait_loadcnt_dscnt 0x0
	v_mul_f32_e32 v14, v23, v3
	v_mul_f32_e32 v15, v22, v3
	s_delay_alu instid0(VALU_DEP_2) | instskip(NEXT) | instid1(VALU_DEP_2)
	v_fma_f32 v14, v22, v2, -v14
	v_fmac_f32_e32 v15, v23, v2
	global_load_b64 v[2:3], v98, s[16:17] offset:16856
	ds_store_2addr_b64 v127, v[32:33], v[14:15] offset0:179 offset1:228
	s_wait_loadcnt 0x0
	v_mul_f32_e32 v14, v27, v3
	;; [unrolled: 16-line block ×16, first 2 shown]
	v_mul_f32_e32 v3, v20, v15
	s_delay_alu instid0(VALU_DEP_2) | instskip(NEXT) | instid1(VALU_DEP_2)
	v_fma_f32 v2, v20, v14, -v2
	v_fmac_f32_e32 v3, v21, v14
	global_load_b64 v[14:15], v98, s[16:17] offset:2352
	s_wait_loadcnt 0x0
	v_mul_f32_e32 v20, v9, v15
	v_mul_f32_e32 v21, v8, v15
	s_delay_alu instid0(VALU_DEP_2) | instskip(NEXT) | instid1(VALU_DEP_2)
	v_fma_f32 v20, v8, v14, -v20
	v_fmac_f32_e32 v21, v9, v14
	v_add_nc_u32_e32 v8, 0x400, v98
	ds_store_2addr_b64 v8, v[18:19], v[20:21] offset0:117 offset1:166
	global_load_b64 v[8:9], v98, s[16:17] offset:5096
	s_wait_loadcnt 0x0
	v_mul_f32_e32 v14, v25, v9
	v_mul_f32_e32 v15, v24, v9
	s_delay_alu instid0(VALU_DEP_2) | instskip(NEXT) | instid1(VALU_DEP_2)
	v_fma_f32 v14, v24, v8, -v14
	v_fmac_f32_e32 v15, v25, v8
	global_load_b64 v[8:9], v98, s[16:17] offset:7840
	ds_store_2addr_b64 v45, v[14:15], v[12:13] offset0:125 offset1:174
	s_wait_loadcnt 0x0
	v_mul_f32_e32 v12, v5, v9
	v_mul_f32_e32 v13, v4, v9
	s_delay_alu instid0(VALU_DEP_2) | instskip(NEXT) | instid1(VALU_DEP_2)
	v_fma_f32 v12, v4, v8, -v12
	v_fmac_f32_e32 v13, v5, v8
	global_load_b64 v[4:5], v98, s[16:17] offset:10584
	ds_store_2addr_b64 v49, v[22:23], v[12:13] offset0:163 offset1:212
	;; [unrolled: 8-line block ×4, first 2 shown]
	s_wait_loadcnt 0x0
	v_mul_f32_e32 v4, v17, v1
	v_mul_f32_e32 v5, v16, v1
	s_delay_alu instid0(VALU_DEP_2) | instskip(NEXT) | instid1(VALU_DEP_2)
	v_fma_f32 v4, v16, v0, -v4
	v_dual_fmac_f32 v5, v17, v0 :: v_dual_add_nc_u32 v0, 0x3c00, v98
	ds_store_2addr_b64 v0, v[4:5], v[6:7] offset0:89 offset1:138
	ds_load_b64 v[0:1], v98 offset:18816
	global_load_b64 v[4:5], v98, s[16:17] offset:18816
	s_wait_loadcnt_dscnt 0x0
	v_mul_f32_e32 v6, v1, v5
	v_mul_f32_e32 v7, v0, v5
	s_delay_alu instid0(VALU_DEP_2) | instskip(NEXT) | instid1(VALU_DEP_2)
	v_fma_f32 v6, v0, v4, -v6
	v_fmac_f32_e32 v7, v1, v4
	ds_store_2addr_b64 v41, v[2:3], v[6:7] offset0:127 offset1:176
	global_wb scope:SCOPE_SE
	s_wait_dscnt 0x0
	s_barrier_signal -1
	s_barrier_wait -1
	global_inv scope:SCOPE_SE
	ds_load_2addr_b64 v[62:65], v98 offset1:49
	ds_load_2addr_b64 v[240:243], v101 offset0:38 offset1:87
	ds_load_2addr_b64 v[76:79], v45 offset0:174 offset1:223
	;; [unrolled: 1-line block ×14, first 2 shown]
	v_mov_b32_e32 v48, v38
	v_mov_b32_e32 v120, v46
	ds_load_2addr_b64 v[28:31], v121 offset0:152 offset1:201
	ds_load_2addr_b64 v[24:27], v46 offset0:70 offset1:119
	;; [unrolled: 1-line block ×9, first 2 shown]
	ds_load_b64 v[60:61], v98 offset:18816
	s_wait_dscnt 0x13
	v_add_f32_e32 v70, v76, v246
	s_wait_dscnt 0x12
	v_dual_add_f32 v66, v242, v84 :: v_dual_add_f32 v67, v243, v85
	v_dual_sub_f32 v68, v242, v84 :: v_dual_add_f32 v71, v77, v247
	v_add_f32_e32 v84, v254, v80
	s_delay_alu instid0(VALU_DEP_3) | instskip(SKIP_1) | instid1(VALU_DEP_4)
	v_dual_add_f32 v92, v70, v66 :: v_dual_sub_f32 v69, v243, v85
	v_dual_sub_f32 v76, v76, v246 :: v_dual_add_f32 v85, v255, v81
	v_dual_sub_f32 v80, v80, v254 :: v_dual_add_f32 v93, v71, v67
	v_sub_f32_e32 v94, v70, v66
	v_sub_f32_e32 v66, v66, v84
	v_sub_f32_e32 v70, v84, v70
	v_dual_add_f32 v84, v84, v92 :: v_dual_sub_f32 v77, v77, v247
	v_sub_f32_e32 v81, v81, v255
	v_sub_f32_e32 v95, v71, v67
	;; [unrolled: 1-line block ×5, first 2 shown]
	v_dual_add_f32 v85, v85, v93 :: v_dual_add_f32 v254, v84, v62
	v_sub_f32_e32 v100, v81, v77
	v_add_f32_e32 v96, v80, v76
	s_delay_alu instid0(VALU_DEP_4) | instskip(NEXT) | instid1(VALU_DEP_4)
	v_mul_f32_e32 v92, 0x3f08b237, v99
	v_add_f32_e32 v255, v85, v63
	v_mov_b32_e32 v99, v254
	v_dual_add_f32 v97, v81, v77 :: v_dual_sub_f32 v80, v68, v80
	v_dual_sub_f32 v81, v69, v81 :: v_dual_sub_f32 v76, v76, v68
	v_dual_sub_f32 v77, v77, v69 :: v_dual_mul_f32 v62, 0x3f4a47b2, v66
	v_mul_f32_e32 v63, 0x3f4a47b2, v67
	v_mul_f32_e32 v66, 0x3d64c772, v70
	;; [unrolled: 1-line block ×3, first 2 shown]
	v_dual_fmac_f32 v99, 0xbf955555, v84 :: v_dual_mov_b32 v84, v255
	v_dual_add_f32 v68, v96, v68 :: v_dual_add_f32 v69, v97, v69
	v_mul_f32_e32 v67, 0x3d64c772, v71
	v_dual_mul_f32 v96, 0x3f5ff5aa, v76 :: v_dual_mul_f32 v97, 0x3f5ff5aa, v77
	s_delay_alu instid0(VALU_DEP_4)
	v_fmac_f32_e32 v84, 0xbf955555, v85
	v_dual_fmamk_f32 v70, v70, 0x3d64c772, v62 :: v_dual_fmamk_f32 v71, v71, 0x3d64c772, v63
	v_fma_f32 v66, 0x3f3bfb3b, v94, -v66
	v_fma_f32 v62, 0xbf3bfb3b, v94, -v62
	v_dual_fmamk_f32 v85, v80, 0xbeae86e6, v92 :: v_dual_fmamk_f32 v94, v81, 0xbeae86e6, v93
	v_fma_f32 v63, 0xbf3bfb3b, v95, -v63
	v_fma_f32 v76, 0xbf5ff5aa, v76, -v92
	;; [unrolled: 1-line block ×3, first 2 shown]
	v_dual_fmac_f32 v96, 0x3eae86e6, v80 :: v_dual_fmac_f32 v97, 0x3eae86e6, v81
	v_dual_add_f32 v70, v70, v99 :: v_dual_add_f32 v71, v71, v84
	v_dual_fmac_f32 v85, 0xbee1c552, v68 :: v_dual_fmac_f32 v94, 0xbee1c552, v69
	v_dual_add_f32 v62, v62, v99 :: v_dual_add_f32 v63, v63, v84
	v_dual_fmac_f32 v76, 0xbee1c552, v68 :: v_dual_fmac_f32 v77, 0xbee1c552, v69
	v_dual_fmac_f32 v96, 0xbee1c552, v68 :: v_dual_fmac_f32 v97, 0xbee1c552, v69
	s_delay_alu instid0(VALU_DEP_4) | instskip(SKIP_2) | instid1(VALU_DEP_4)
	v_dual_add_f32 v68, v70, v94 :: v_dual_sub_f32 v69, v71, v85
	v_fma_f32 v67, 0x3f3bfb3b, v95, -v67
	v_add_f32_e32 v66, v66, v99
	v_dual_sub_f32 v92, v62, v97 :: v_dual_add_f32 v93, v96, v63
	scratch_store_b64 off, v[68:69], off offset:960 ; 8-byte Folded Spill
	v_dual_add_f32 v68, v97, v62 :: v_dual_sub_f32 v69, v63, v96
	s_wait_dscnt 0x11
	v_dual_add_f32 v67, v67, v84 :: v_dual_add_f32 v62, v88, v86
	v_dual_sub_f32 v94, v70, v94 :: v_dual_add_f32 v63, v89, v87
	scratch_store_b64 off, v[68:69], off offset:968 ; 8-byte Folded Spill
	s_wait_dscnt 0xf
	v_add_f32_e32 v68, v78, v0
	v_dual_add_f32 v100, v76, v67 :: v_dual_sub_f32 v109, v67, v76
	v_dual_add_f32 v69, v79, v1 :: v_dual_add_f32 v70, v4, v82
	s_delay_alu instid0(VALU_DEP_3)
	v_dual_add_f32 v76, v68, v62 :: v_dual_sub_f32 v99, v66, v77
	v_add_f32_e32 v108, v77, v66
	v_dual_add_f32 v95, v85, v71 :: v_dual_sub_f32 v66, v88, v86
	v_dual_sub_f32 v0, v78, v0 :: v_dual_add_f32 v71, v5, v83
	v_dual_sub_f32 v4, v82, v4 :: v_dual_add_f32 v77, v69, v63
	v_sub_f32_e32 v78, v68, v62
	v_sub_f32_e32 v62, v62, v70
	v_sub_f32_e32 v68, v70, v68
	v_dual_add_f32 v70, v70, v76 :: v_dual_sub_f32 v67, v89, v87
	v_sub_f32_e32 v1, v79, v1
	v_sub_f32_e32 v5, v83, v5
	;; [unrolled: 1-line block ×4, first 2 shown]
	v_dual_sub_f32 v69, v71, v69 :: v_dual_add_f32 v80, v4, v0
	v_sub_f32_e32 v82, v4, v0
	v_dual_sub_f32 v84, v66, v4 :: v_dual_add_f32 v71, v71, v77
	v_dual_add_f32 v4, v70, v64 :: v_dual_add_f32 v81, v5, v1
	v_sub_f32_e32 v83, v5, v1
	v_sub_f32_e32 v85, v67, v5
	v_sub_f32_e32 v1, v1, v67
	v_dual_add_f32 v5, v71, v65 :: v_dual_mul_f32 v76, 0x3f08b237, v82
	v_mov_b32_e32 v82, v4
	v_dual_sub_f32 v0, v0, v66 :: v_dual_add_f32 v67, v81, v67
	v_mul_f32_e32 v62, 0x3f4a47b2, v62
	v_mul_f32_e32 v65, 0x3d64c772, v69
	;; [unrolled: 1-line block ×3, first 2 shown]
	v_fmac_f32_e32 v82, 0xbf955555, v70
	v_mov_b32_e32 v70, v5
	v_dual_add_f32 v66, v80, v66 :: v_dual_mul_f32 v63, 0x3f4a47b2, v63
	v_mul_f32_e32 v64, 0x3d64c772, v68
	v_mul_f32_e32 v77, 0x3f08b237, v83
	;; [unrolled: 1-line block ×3, first 2 shown]
	v_fmac_f32_e32 v70, 0xbf955555, v71
	v_fmamk_f32 v68, v68, 0x3d64c772, v62
	v_fma_f32 v65, 0x3f3bfb3b, v79, -v65
	v_fma_f32 v62, 0xbf3bfb3b, v78, -v62
	;; [unrolled: 1-line block ×3, first 2 shown]
	v_fmac_f32_e32 v81, 0x3eae86e6, v85
	v_fmamk_f32 v69, v69, 0x3d64c772, v63
	v_fma_f32 v64, 0x3f3bfb3b, v78, -v64
	v_fma_f32 v63, 0xbf3bfb3b, v79, -v63
	;; [unrolled: 1-line block ×3, first 2 shown]
	v_dual_fmac_f32 v80, 0x3eae86e6, v84 :: v_dual_add_f32 v65, v65, v70
	v_add_f32_e32 v62, v62, v82
	v_dual_fmac_f32 v0, 0xbee1c552, v66 :: v_dual_fmac_f32 v81, 0xbee1c552, v67
	v_add_f32_e32 v64, v64, v82
	v_add_f32_e32 v63, v63, v70
	v_dual_fmac_f32 v1, 0xbee1c552, v67 :: v_dual_fmac_f32 v80, 0xbee1c552, v66
	s_delay_alu instid0(VALU_DEP_4)
	v_dual_add_f32 v242, v81, v62 :: v_dual_add_f32 v111, v0, v65
	v_sub_f32_e32 v103, v65, v0
	v_sub_f32_e32 v87, v62, v81
	s_wait_dscnt 0xb
	v_add_f32_e32 v0, v90, v8
	v_add_f32_e32 v62, v12, v2
	v_dual_fmamk_f32 v71, v84, 0xbeae86e6, v76 :: v_dual_fmamk_f32 v78, v85, 0xbeae86e6, v77
	v_dual_sub_f32 v243, v63, v80 :: v_dual_sub_f32 v110, v64, v1
	v_add_f32_e32 v102, v1, v64
	v_dual_add_f32 v88, v80, v63 :: v_dual_add_f32 v1, v91, v9
	v_dual_add_f32 v63, v13, v3 :: v_dual_sub_f32 v2, v12, v2
	v_add_f32_e32 v12, v6, v16
	v_sub_f32_e32 v6, v16, v6
	v_add_f32_e32 v16, v62, v0
	v_add_f32_e32 v68, v68, v82
	v_dual_fmac_f32 v71, 0xbee1c552, v66 :: v_dual_fmac_f32 v78, 0xbee1c552, v67
	v_dual_sub_f32 v8, v90, v8 :: v_dual_sub_f32 v3, v13, v3
	v_add_f32_e32 v13, v7, v17
	v_sub_f32_e32 v7, v17, v7
	v_dual_add_f32 v17, v63, v1 :: v_dual_sub_f32 v64, v62, v0
	v_sub_f32_e32 v66, v0, v12
	v_sub_f32_e32 v62, v12, v62
	v_add_f32_e32 v0, v6, v2
	v_dual_add_f32 v12, v12, v16 :: v_dual_add_f32 v69, v69, v70
	v_add_f32_e32 v246, v68, v78
	v_dual_sub_f32 v96, v68, v78 :: v_dual_sub_f32 v9, v91, v9
	v_sub_f32_e32 v65, v63, v1
	v_sub_f32_e32 v67, v1, v13
	;; [unrolled: 1-line block ×3, first 2 shown]
	v_dual_add_f32 v1, v7, v3 :: v_dual_sub_f32 v68, v6, v2
	v_sub_f32_e32 v6, v8, v6
	v_dual_sub_f32 v2, v2, v8 :: v_dual_add_f32 v13, v13, v17
	v_add_f32_e32 v8, v0, v8
	v_dual_add_f32 v0, v12, v52 :: v_dual_sub_f32 v247, v69, v71
	v_add_f32_e32 v97, v71, v69
	v_sub_f32_e32 v69, v7, v3
	v_sub_f32_e32 v7, v9, v7
	;; [unrolled: 1-line block ×3, first 2 shown]
	v_add_f32_e32 v9, v1, v9
	v_dual_add_f32 v1, v13, v53 :: v_dual_mov_b32 v70, v0
	v_dual_mul_f32 v16, 0x3f4a47b2, v66 :: v_dual_mul_f32 v17, 0x3f4a47b2, v67
	v_dual_mul_f32 v52, 0x3d64c772, v62 :: v_dual_mul_f32 v53, 0x3d64c772, v63
	;; [unrolled: 1-line block ×3, first 2 shown]
	s_delay_alu instid0(VALU_DEP_4) | instskip(SKIP_4) | instid1(VALU_DEP_4)
	v_fmac_f32_e32 v70, 0xbf955555, v12
	v_mov_b32_e32 v12, v1
	v_dual_mul_f32 v68, 0x3f5ff5aa, v2 :: v_dual_mul_f32 v69, 0x3f5ff5aa, v3
	v_fma_f32 v52, 0x3f3bfb3b, v64, -v52
	v_fma_f32 v53, 0x3f3bfb3b, v65, -v53
	v_fmac_f32_e32 v12, 0xbf955555, v13
	v_dual_fmamk_f32 v13, v62, 0x3d64c772, v16 :: v_dual_fmamk_f32 v62, v63, 0x3d64c772, v17
	v_fma_f32 v2, 0xbf5ff5aa, v2, -v66
	v_fma_f32 v3, 0xbf5ff5aa, v3, -v67
	;; [unrolled: 1-line block ×4, first 2 shown]
	v_dual_fmamk_f32 v63, v6, 0xbeae86e6, v66 :: v_dual_fmamk_f32 v64, v7, 0xbeae86e6, v67
	v_dual_fmac_f32 v68, 0x3eae86e6, v6 :: v_dual_fmac_f32 v69, 0x3eae86e6, v7
	v_dual_add_f32 v6, v13, v70 :: v_dual_add_f32 v7, v62, v12
	v_dual_add_f32 v13, v52, v70 :: v_dual_add_f32 v62, v53, v12
	v_dual_fmac_f32 v2, 0xbee1c552, v8 :: v_dual_fmac_f32 v3, 0xbee1c552, v9
	v_add_f32_e32 v66, v17, v12
	v_dual_fmac_f32 v63, 0xbee1c552, v8 :: v_dual_fmac_f32 v64, 0xbee1c552, v9
	v_dual_fmac_f32 v68, 0xbee1c552, v8 :: v_dual_fmac_f32 v69, 0xbee1c552, v9
	s_delay_alu instid0(VALU_DEP_4)
	v_dual_sub_f32 v8, v13, v3 :: v_dual_add_f32 v9, v2, v62
	v_dual_add_f32 v12, v3, v13 :: v_dual_sub_f32 v13, v62, v2
	s_wait_dscnt 0xa
	v_add_f32_e32 v62, v20, v10
	v_sub_f32_e32 v10, v20, v10
	s_wait_dscnt 0x8
	v_dual_add_f32 v20, v14, v24 :: v_dual_sub_f32 v17, v7, v63
	v_add_f32_e32 v7, v63, v7
	v_add_f32_e32 v63, v21, v11
	v_sub_f32_e32 v11, v21, v11
	v_dual_add_f32 v21, v15, v25 :: v_dual_sub_f32 v14, v14, v24
	v_add_f32_e32 v24, v28, v18
	v_sub_f32_e32 v18, v18, v28
	v_add_f32_e32 v28, v20, v62
	v_dual_add_f32 v65, v16, v70 :: v_dual_add_f32 v16, v6, v64
	v_dual_sub_f32 v6, v6, v64 :: v_dual_sub_f32 v15, v15, v25
	v_add_f32_e32 v25, v29, v19
	v_sub_f32_e32 v19, v19, v29
	v_dual_add_f32 v29, v21, v63 :: v_dual_sub_f32 v64, v20, v62
	v_sub_f32_e32 v62, v62, v24
	v_sub_f32_e32 v20, v24, v20
	v_add_f32_e32 v24, v24, v28
	v_add_f32_e32 v52, v69, v65
	v_sub_f32_e32 v2, v65, v69
	v_sub_f32_e32 v65, v21, v63
	;; [unrolled: 1-line block ×4, first 2 shown]
	v_dual_add_f32 v25, v25, v29 :: v_dual_add_f32 v54, v24, v54
	v_add_f32_e32 v67, v19, v15
	v_sub_f32_e32 v69, v19, v15
	v_sub_f32_e32 v15, v15, v11
	s_delay_alu instid0(VALU_DEP_4)
	v_dual_add_f32 v55, v25, v55 :: v_dual_mov_b32 v70, v54
	v_sub_f32_e32 v53, v66, v68
	v_add_f32_e32 v3, v68, v66
	v_add_f32_e32 v66, v18, v14
	v_dual_sub_f32 v68, v18, v14 :: v_dual_sub_f32 v19, v11, v19
	v_dual_sub_f32 v14, v14, v10 :: v_dual_add_f32 v11, v67, v11
	v_dual_mul_f32 v28, 0x3f4a47b2, v62 :: v_dual_mul_f32 v29, 0x3f4a47b2, v63
	v_dual_mul_f32 v62, 0x3d64c772, v20 :: v_dual_mul_f32 v63, 0x3d64c772, v21
	v_mul_f32_e32 v67, 0x3f08b237, v69
	v_mul_f32_e32 v69, 0x3f5ff5aa, v15
	v_fmac_f32_e32 v70, 0xbf955555, v24
	v_mov_b32_e32 v24, v55
	v_sub_f32_e32 v18, v10, v18
	v_add_f32_e32 v10, v66, v10
	v_mul_f32_e32 v66, 0x3f08b237, v68
	v_mul_f32_e32 v68, 0x3f5ff5aa, v14
	v_fmac_f32_e32 v24, 0xbf955555, v25
	v_dual_fmamk_f32 v20, v20, 0x3d64c772, v28 :: v_dual_fmamk_f32 v21, v21, 0x3d64c772, v29
	v_fma_f32 v25, 0x3f3bfb3b, v64, -v62
	v_fma_f32 v62, 0x3f3bfb3b, v65, -v63
	;; [unrolled: 1-line block ×3, first 2 shown]
	v_fmac_f32_e32 v69, 0x3eae86e6, v19
	v_fmamk_f32 v63, v18, 0xbeae86e6, v66
	v_fma_f32 v14, 0xbf5ff5aa, v14, -v66
	v_fma_f32 v15, 0xbf5ff5aa, v15, -v67
	v_fmac_f32_e32 v68, 0x3eae86e6, v18
	v_add_f32_e32 v66, v21, v24
	v_dual_add_f32 v21, v62, v24 :: v_dual_add_f32 v62, v28, v70
	v_fmac_f32_e32 v69, 0xbee1c552, v11
	v_fma_f32 v29, 0xbf3bfb3b, v65, -v29
	v_dual_fmamk_f32 v64, v19, 0xbeae86e6, v67 :: v_dual_add_f32 v65, v20, v70
	v_add_f32_e32 v20, v25, v70
	v_fmac_f32_e32 v63, 0xbee1c552, v10
	v_dual_fmac_f32 v14, 0xbee1c552, v10 :: v_dual_fmac_f32 v15, 0xbee1c552, v11
	v_fmac_f32_e32 v68, 0xbee1c552, v10
	v_add_f32_e32 v28, v69, v62
	v_sub_f32_e32 v10, v62, v69
	s_wait_dscnt 0x4
	v_add_f32_e32 v62, v22, v32
	v_sub_f32_e32 v22, v22, v32
	v_add_f32_e32 v32, v36, v26
	v_fmac_f32_e32 v64, 0xbee1c552, v11
	v_sub_f32_e32 v25, v66, v63
	v_sub_f32_e32 v18, v20, v15
	v_add_f32_e32 v20, v15, v20
	v_add_f32_e32 v15, v63, v66
	;; [unrolled: 1-line block ×3, first 2 shown]
	v_sub_f32_e32 v23, v23, v33
	v_dual_add_f32 v33, v37, v27 :: v_dual_sub_f32 v26, v36, v26
	v_add_f32_e32 v36, v30, v40
	v_sub_f32_e32 v30, v40, v30
	v_dual_add_f32 v40, v32, v62 :: v_dual_add_f32 v67, v29, v24
	v_dual_add_f32 v24, v65, v64 :: v_dual_add_f32 v19, v14, v21
	v_sub_f32_e32 v21, v21, v14
	v_sub_f32_e32 v14, v65, v64
	;; [unrolled: 1-line block ×3, first 2 shown]
	v_add_f32_e32 v37, v31, v41
	v_sub_f32_e32 v31, v41, v31
	v_dual_add_f32 v41, v33, v63 :: v_dual_sub_f32 v64, v32, v62
	v_sub_f32_e32 v62, v62, v36
	v_sub_f32_e32 v32, v36, v32
	v_dual_add_f32 v36, v36, v40 :: v_dual_sub_f32 v65, v33, v63
	v_sub_f32_e32 v63, v63, v37
	v_sub_f32_e32 v33, v37, v33
	s_delay_alu instid0(VALU_DEP_3)
	v_dual_add_f32 v37, v37, v41 :: v_dual_add_f32 v56, v36, v56
	v_sub_f32_e32 v29, v67, v68
	v_add_f32_e32 v11, v68, v67
	v_add_f32_e32 v67, v31, v27
	v_sub_f32_e32 v69, v31, v27
	v_sub_f32_e32 v27, v27, v23
	v_dual_add_f32 v57, v37, v57 :: v_dual_mov_b32 v70, v56
	v_add_f32_e32 v66, v30, v26
	v_dual_sub_f32 v68, v30, v26 :: v_dual_sub_f32 v31, v23, v31
	v_dual_sub_f32 v26, v26, v22 :: v_dual_add_f32 v23, v67, v23
	v_dual_mul_f32 v40, 0x3f4a47b2, v62 :: v_dual_mul_f32 v41, 0x3f4a47b2, v63
	v_dual_mul_f32 v62, 0x3d64c772, v32 :: v_dual_mul_f32 v63, 0x3d64c772, v33
	v_mul_f32_e32 v67, 0x3f08b237, v69
	v_mul_f32_e32 v69, 0x3f5ff5aa, v27
	v_fmac_f32_e32 v70, 0xbf955555, v36
	v_mov_b32_e32 v36, v57
	v_sub_f32_e32 v30, v22, v30
	v_add_f32_e32 v22, v66, v22
	v_mul_f32_e32 v66, 0x3f08b237, v68
	v_mul_f32_e32 v68, 0x3f5ff5aa, v26
	v_fmac_f32_e32 v36, 0xbf955555, v37
	v_dual_fmamk_f32 v32, v32, 0x3d64c772, v40 :: v_dual_fmamk_f32 v33, v33, 0x3d64c772, v41
	v_fma_f32 v37, 0x3f3bfb3b, v64, -v62
	v_fma_f32 v62, 0x3f3bfb3b, v65, -v63
	;; [unrolled: 1-line block ×3, first 2 shown]
	v_fmac_f32_e32 v69, 0x3eae86e6, v31
	v_dual_fmamk_f32 v63, v30, 0xbeae86e6, v66 :: v_dual_fmamk_f32 v64, v31, 0xbeae86e6, v67
	v_fma_f32 v26, 0xbf5ff5aa, v26, -v66
	v_fma_f32 v27, 0xbf5ff5aa, v27, -v67
	v_fmac_f32_e32 v68, 0x3eae86e6, v30
	v_add_f32_e32 v66, v33, v36
	v_dual_add_f32 v33, v62, v36 :: v_dual_add_f32 v62, v40, v70
	v_fmac_f32_e32 v69, 0xbee1c552, v23
	v_fma_f32 v41, 0xbf3bfb3b, v65, -v41
	v_add_f32_e32 v65, v32, v70
	v_add_f32_e32 v32, v37, v70
	v_dual_fmac_f32 v63, 0xbee1c552, v22 :: v_dual_fmac_f32 v64, 0xbee1c552, v23
	v_dual_fmac_f32 v26, 0xbee1c552, v22 :: v_dual_fmac_f32 v27, 0xbee1c552, v23
	v_fmac_f32_e32 v68, 0xbee1c552, v22
	v_add_f32_e32 v40, v69, v62
	v_sub_f32_e32 v22, v62, v69
	s_wait_dscnt 0x3
	v_add_f32_e32 v62, v44, v34
	v_sub_f32_e32 v34, v44, v34
	s_wait_dscnt 0x1
	v_add_f32_e32 v44, v38, v48
	v_add_f32_e32 v67, v41, v36
	v_dual_add_f32 v36, v65, v64 :: v_dual_sub_f32 v37, v66, v63
	v_dual_sub_f32 v30, v32, v27 :: v_dual_add_f32 v31, v26, v33
	v_dual_add_f32 v32, v27, v32 :: v_dual_sub_f32 v33, v33, v26
	v_dual_sub_f32 v26, v65, v64 :: v_dual_add_f32 v27, v63, v66
	v_add_f32_e32 v63, v45, v35
	v_sub_f32_e32 v35, v45, v35
	v_dual_add_f32 v45, v39, v49 :: v_dual_sub_f32 v38, v38, v48
	v_add_f32_e32 v48, v248, v42
	v_sub_f32_e32 v42, v42, v248
	v_dual_add_f32 v64, v44, v62 :: v_dual_sub_f32 v41, v67, v68
	v_add_f32_e32 v23, v68, v67
	v_sub_f32_e32 v39, v39, v49
	v_add_f32_e32 v49, v249, v43
	v_sub_f32_e32 v43, v43, v249
	v_dual_add_f32 v65, v45, v63 :: v_dual_sub_f32 v66, v44, v62
	v_sub_f32_e32 v68, v62, v48
	v_sub_f32_e32 v44, v48, v44
	v_add_f32_e32 v62, v42, v38
	v_dual_add_f32 v48, v48, v64 :: v_dual_sub_f32 v67, v45, v63
	v_sub_f32_e32 v69, v63, v49
	v_sub_f32_e32 v45, v49, v45
	v_dual_add_f32 v63, v43, v39 :: v_dual_sub_f32 v70, v42, v38
	v_sub_f32_e32 v42, v34, v42
	v_dual_sub_f32 v38, v38, v34 :: v_dual_add_f32 v49, v49, v65
	v_add_f32_e32 v34, v62, v34
	v_dual_add_f32 v62, v48, v58 :: v_dual_sub_f32 v71, v43, v39
	v_sub_f32_e32 v43, v35, v43
	v_sub_f32_e32 v39, v39, v35
	v_add_f32_e32 v35, v63, v35
	s_delay_alu instid0(VALU_DEP_4)
	v_dual_add_f32 v63, v49, v59 :: v_dual_mov_b32 v76, v62
	v_dual_mul_f32 v58, 0x3f4a47b2, v68 :: v_dual_mul_f32 v59, 0x3f4a47b2, v69
	v_dual_mul_f32 v64, 0x3d64c772, v44 :: v_dual_mul_f32 v65, 0x3d64c772, v45
	v_mul_f32_e32 v69, 0x3f08b237, v71
	v_mul_f32_e32 v71, 0x3f5ff5aa, v39
	v_fmac_f32_e32 v76, 0xbf955555, v48
	v_mov_b32_e32 v48, v63
	v_mul_f32_e32 v68, 0x3f08b237, v70
	v_mul_f32_e32 v70, 0x3f5ff5aa, v38
	v_dual_fmamk_f32 v44, v44, 0x3d64c772, v58 :: v_dual_fmamk_f32 v45, v45, 0x3d64c772, v59
	s_delay_alu instid0(VALU_DEP_4)
	v_fmac_f32_e32 v48, 0xbf955555, v49
	v_fma_f32 v49, 0x3f3bfb3b, v66, -v64
	v_fma_f32 v64, 0x3f3bfb3b, v67, -v65
	;; [unrolled: 1-line block ×3, first 2 shown]
	v_fmac_f32_e32 v71, 0x3eae86e6, v43
	v_fma_f32 v59, 0xbf3bfb3b, v67, -v59
	v_dual_fmamk_f32 v65, v42, 0xbeae86e6, v68 :: v_dual_fmamk_f32 v66, v43, 0xbeae86e6, v69
	v_fma_f32 v38, 0xbf5ff5aa, v38, -v68
	v_fma_f32 v39, 0xbf5ff5aa, v39, -v69
	v_fmac_f32_e32 v70, 0x3eae86e6, v42
	v_add_f32_e32 v68, v45, v48
	v_add_f32_e32 v45, v64, v48
	v_dual_add_f32 v64, v58, v76 :: v_dual_fmac_f32 v71, 0xbee1c552, v35
	v_add_f32_e32 v67, v44, v76
	v_add_f32_e32 v44, v49, v76
	;; [unrolled: 1-line block ×3, first 2 shown]
	v_dual_fmac_f32 v65, 0xbee1c552, v34 :: v_dual_fmac_f32 v66, 0xbee1c552, v35
	v_dual_fmac_f32 v38, 0xbee1c552, v34 :: v_dual_fmac_f32 v39, 0xbee1c552, v35
	v_fmac_f32_e32 v70, 0xbee1c552, v34
	v_add_f32_e32 v58, v71, v64
	v_sub_f32_e32 v34, v64, v71
	s_wait_dscnt 0x0
	v_add_f32_e32 v64, v46, v60
	v_sub_f32_e32 v46, v46, v60
	v_add_f32_e32 v60, v252, v50
	v_dual_add_f32 v48, v67, v66 :: v_dual_sub_f32 v49, v68, v65
	v_dual_sub_f32 v59, v69, v70 :: v_dual_sub_f32 v42, v44, v39
	v_dual_add_f32 v43, v38, v45 :: v_dual_add_f32 v44, v39, v44
	v_sub_f32_e32 v45, v45, v38
	v_dual_add_f32 v35, v70, v69 :: v_dual_sub_f32 v38, v67, v66
	v_add_f32_e32 v39, v65, v68
	v_add_f32_e32 v65, v47, v61
	v_sub_f32_e32 v47, v47, v61
	v_dual_add_f32 v61, v253, v51 :: v_dual_add_f32 v66, v250, v244
	v_add_f32_e32 v70, v60, v64
	v_dual_sub_f32 v50, v252, v50 :: v_dual_sub_f32 v51, v253, v51
	v_dual_add_f32 v67, v251, v245 :: v_dual_sub_f32 v68, v244, v250
	v_sub_f32_e32 v69, v245, v251
	v_dual_add_f32 v71, v61, v65 :: v_dual_sub_f32 v76, v60, v64
	v_sub_f32_e32 v64, v64, v66
	v_sub_f32_e32 v60, v66, v60
	v_dual_add_f32 v66, v66, v70 :: v_dual_sub_f32 v77, v61, v65
	v_sub_f32_e32 v65, v65, v67
	v_dual_sub_f32 v61, v67, v61 :: v_dual_add_f32 v78, v68, v50
	v_dual_add_f32 v79, v69, v51 :: v_dual_sub_f32 v80, v68, v50
	v_sub_f32_e32 v81, v69, v51
	v_sub_f32_e32 v51, v51, v47
	v_dual_add_f32 v67, v67, v71 :: v_dual_add_f32 v82, v66, v240
	v_dual_sub_f32 v68, v46, v68 :: v_dual_sub_f32 v69, v47, v69
	v_sub_f32_e32 v50, v50, v46
	s_delay_alu instid0(VALU_DEP_3)
	v_dual_add_f32 v46, v78, v46 :: v_dual_add_f32 v83, v67, v241
	v_mul_f32_e32 v64, 0x3f4a47b2, v64
	v_mul_f32_e32 v78, 0x3f08b237, v80
	v_dual_mul_f32 v85, 0x3f5ff5aa, v51 :: v_dual_mov_b32 v80, v82
	v_dual_add_f32 v47, v79, v47 :: v_dual_mul_f32 v70, 0x3d64c772, v60
	v_mul_f32_e32 v71, 0x3d64c772, v61
	v_mul_f32_e32 v84, 0x3f5ff5aa, v50
	s_delay_alu instid0(VALU_DEP_4)
	v_fmac_f32_e32 v80, 0xbf955555, v66
	v_mov_b32_e32 v66, v83
	v_fmamk_f32 v60, v60, 0x3d64c772, v64
	v_fma_f32 v64, 0xbf3bfb3b, v76, -v64
	v_fmac_f32_e32 v85, 0x3eae86e6, v69
	v_fma_f32 v50, 0xbf5ff5aa, v50, -v78
	v_fmac_f32_e32 v66, 0xbf955555, v67
	v_fma_f32 v67, 0x3f3bfb3b, v76, -v70
	v_fma_f32 v70, 0x3f3bfb3b, v77, -v71
	v_fmamk_f32 v71, v68, 0xbeae86e6, v78
	v_fmac_f32_e32 v84, 0x3eae86e6, v68
	v_dual_add_f32 v64, v64, v80 :: v_dual_fmac_f32 v85, 0xbee1c552, v47
	v_add_f32_e32 v68, v60, v80
	v_add_f32_e32 v67, v67, v80
	v_fmac_f32_e32 v71, 0xbee1c552, v46
	v_fmac_f32_e32 v50, 0xbee1c552, v46
	;; [unrolled: 1-line block ×3, first 2 shown]
	v_add_f32_e32 v80, v85, v64
	v_sub_f32_e32 v46, v64, v85
	global_wb scope:SCOPE_SE
	s_wait_storecnt 0x0
	s_barrier_signal -1
	s_barrier_wait -1
	global_inv scope:SCOPE_SE
	scratch_load_b32 v64, off, off offset:904 th:TH_LOAD_LU ; 4-byte Folded Reload
	v_mul_f32_e32 v65, 0x3f4a47b2, v65
	v_dual_mul_f32 v79, 0x3f08b237, v81 :: v_dual_add_f32 v70, v70, v66
	s_delay_alu instid0(VALU_DEP_2) | instskip(SKIP_1) | instid1(VALU_DEP_3)
	v_fmamk_f32 v61, v61, 0x3d64c772, v65
	v_fma_f32 v65, 0xbf3bfb3b, v77, -v65
	v_fmamk_f32 v86, v69, 0xbeae86e6, v79
	v_fma_f32 v51, 0xbf5ff5aa, v51, -v79
	v_sub_f32_e32 v77, v70, v50
	v_add_f32_e32 v69, v61, v66
	s_delay_alu instid0(VALU_DEP_4) | instskip(NEXT) | instid1(VALU_DEP_4)
	v_dual_add_f32 v65, v65, v66 :: v_dual_fmac_f32 v86, 0xbee1c552, v47
	v_fmac_f32_e32 v51, 0xbee1c552, v47
	v_add_f32_e32 v61, v50, v70
	s_delay_alu instid0(VALU_DEP_4) | instskip(NEXT) | instid1(VALU_DEP_4)
	v_sub_f32_e32 v79, v69, v71
	v_dual_sub_f32 v81, v65, v84 :: v_dual_add_f32 v78, v68, v86
	s_delay_alu instid0(VALU_DEP_4)
	v_sub_f32_e32 v60, v67, v51
	v_dual_add_f32 v76, v51, v67 :: v_dual_add_f32 v47, v84, v65
	v_dual_sub_f32 v50, v68, v86 :: v_dual_add_f32 v51, v71, v69
	s_wait_loadcnt 0x0
	ds_store_b64 v64, v[254:255]
	s_clause 0x1
	scratch_load_b64 v[65:66], off, off offset:960 th:TH_LOAD_LU
	scratch_load_b64 v[67:68], off, off offset:968 th:TH_LOAD_LU
	s_wait_loadcnt 0x0
	ds_store_2addr_b64 v64, v[65:66], v[67:68] offset0:1 offset1:2
	ds_store_2addr_b64 v64, v[99:100], v[108:109] offset0:3 offset1:4
	ds_store_2addr_b64 v64, v[92:93], v[94:95] offset0:5 offset1:6
	scratch_load_b32 v64, off, off offset:924 th:TH_LOAD_LU ; 4-byte Folded Reload
	s_wait_loadcnt 0x0
	ds_store_b64 v64, v[4:5]
	ds_store_2addr_b64 v64, v[246:247], v[242:243] offset0:1 offset1:2
	ds_store_2addr_b64 v64, v[110:111], v[102:103] offset0:3 offset1:4
	ds_store_2addr_b64 v64, v[87:88], v[96:97] offset0:5 offset1:6
	scratch_load_b32 v4, off, off offset:884 th:TH_LOAD_LU ; 4-byte Folded Reload
	s_wait_loadcnt 0x0
	ds_store_b64 v4, v[0:1]
	;; [unrolled: 6-line block ×6, first 2 shown]
	ds_store_2addr_b64 v0, v[78:79], v[80:81] offset0:1 offset1:2
	ds_store_2addr_b64 v0, v[60:61], v[76:77] offset0:3 offset1:4
	;; [unrolled: 1-line block ×3, first 2 shown]
	v_add_nc_u32_e32 v1, 0x1c00, v98
	v_add_nc_u32_e32 v0, 0x3400, v98
	global_wb scope:SCOPE_SE
	s_wait_dscnt 0x0
	s_barrier_signal -1
	s_barrier_wait -1
	global_inv scope:SCOPE_SE
	ds_load_2addr_b64 v[68:71], v98 offset1:49
	ds_load_2addr_b64 v[240:243], v101 offset0:38 offset1:87
	ds_load_2addr_b64 v[14:17], v106 offset0:174 offset1:223
	;; [unrolled: 1-line block ×13, first 2 shown]
	v_mov_b32_e32 v1, v127
	ds_load_2addr_b64 v[80:83], v107 offset0:106 offset1:155
	ds_load_2addr_b64 v[84:87], v121 offset0:152 offset1:201
	;; [unrolled: 1-line block ×8, first 2 shown]
	s_wait_dscnt 0x7
	v_dual_mov_b32 v127, v126 :: v_dual_mul_f32 v62, v193, v83
	v_mul_f32_e32 v46, v151, v60
	v_mul_f32_e32 v53, v143, v78
	;; [unrolled: 1-line block ×3, first 2 shown]
	s_wait_dscnt 0x3
	v_dual_fmac_f32 v62, v192, v82 :: v_dual_mul_f32 v101, v227, v95
	v_fma_f32 v46, v150, v61, -v46
	v_fma_f32 v53, v142, v79, -v53
	v_add_nc_u32_e32 v0, 0x2400, v98
	ds_load_2addr_b64 v[0:3], v0 offset0:122 offset1:171
	ds_load_2addr_b64 v[18:21], v120 offset0:168 offset1:217
	ds_load_b64 v[4:5], v98 offset:18816
	s_clause 0x1
	scratch_load_b128 v[8:11], off, off offset:536 th:TH_LOAD_LU
	scratch_load_b128 v[38:41], off, off offset:520 th:TH_LOAD_LU
	v_fmac_f32_e32 v52, v142, v78
	s_wait_dscnt 0x4
	v_dual_mul_f32 v78, v179, v253 :: v_dual_fmac_f32 v101, v226, v94
	s_delay_alu instid0(VALU_DEP_1) | instskip(SKIP_2) | instid1(VALU_DEP_1)
	v_fmac_f32_e32 v78, v178, v252
	s_wait_dscnt 0x0
	v_mul_f32_e32 v142, v155, v5
	v_fmac_f32_e32 v142, v154, v4
	s_wait_loadcnt 0x1
	v_mul_f32_e32 v6, v9, v242
	s_wait_loadcnt 0x0
	v_dual_mul_f32 v12, v9, v243 :: v_dual_mul_f32 v7, v39, v56
	v_mul_f32_e32 v121, v11, v15
	v_mul_f32_e32 v111, v41, v23
	v_fma_f32 v13, v8, v243, -v6
	v_mul_f32_e32 v6, v11, v14
	v_fmac_f32_e32 v12, v8, v242
	v_fma_f32 v243, v38, v57, -v7
	v_fmac_f32_e32 v121, v10, v14
	v_fmac_f32_e32 v111, v40, v22
	v_fma_f32 v11, v10, v15, -v6
	scratch_load_b128 v[6:9], off, off offset:552 th:TH_LOAD_LU ; 16-byte Folded Reload
	v_mul_f32_e32 v10, v41, v22
	s_delay_alu instid0(VALU_DEP_1) | instskip(SKIP_4) | instid1(VALU_DEP_3)
	v_fma_f32 v10, v40, v23, -v10
	s_wait_loadcnt 0x0
	v_mul_f32_e32 v14, v7, v67
	v_dual_mul_f32 v15, v7, v66 :: v_dual_mul_f32 v40, v9, v27
	v_mul_f32_e32 v22, v9, v26
	v_fmac_f32_e32 v14, v6, v66
	s_delay_alu instid0(VALU_DEP_3) | instskip(NEXT) | instid1(VALU_DEP_4)
	v_fma_f32 v15, v6, v67, -v15
	v_fmac_f32_e32 v40, v8, v26
	s_delay_alu instid0(VALU_DEP_4) | instskip(SKIP_3) | instid1(VALU_DEP_1)
	v_fma_f32 v41, v8, v27, -v22
	scratch_load_b128 v[6:9], off, off offset:660 th:TH_LOAD_LU ; 16-byte Folded Reload
	v_mul_f32_e32 v66, v177, v90
	v_mul_f32_e32 v67, v225, v106
	v_fma_f32 v67, v224, v107, -v67
	s_wait_loadcnt 0x0
	v_dual_mul_f32 v97, v9, v17 :: v_dual_mul_f32 v22, v7, v31
	v_mul_f32_e32 v23, v7, v30
	s_delay_alu instid0(VALU_DEP_2) | instskip(SKIP_1) | instid1(VALU_DEP_4)
	v_fmac_f32_e32 v97, v8, v16
	v_mul_f32_e32 v16, v9, v16
	v_fmac_f32_e32 v22, v6, v30
	s_delay_alu instid0(VALU_DEP_4) | instskip(NEXT) | instid1(VALU_DEP_3)
	v_fma_f32 v23, v6, v31, -v23
	v_fma_f32 v126, v8, v17, -v16
	scratch_load_b128 v[6:9], off, off offset:692 th:TH_LOAD_LU ; 16-byte Folded Reload
	s_wait_loadcnt 0x0
	v_mul_f32_e32 v96, v9, v25
	v_mul_f32_e32 v16, v7, v35
	s_delay_alu instid0(VALU_DEP_2) | instskip(SKIP_1) | instid1(VALU_DEP_3)
	v_dual_mul_f32 v17, v7, v34 :: v_dual_fmac_f32 v96, v8, v24
	v_mul_f32_e32 v24, v9, v24
	v_fmac_f32_e32 v16, v6, v34
	s_delay_alu instid0(VALU_DEP_3) | instskip(NEXT) | instid1(VALU_DEP_3)
	v_fma_f32 v17, v6, v35, -v17
	v_fma_f32 v99, v8, v25, -v24
	scratch_load_b128 v[6:9], off, off offset:708 th:TH_LOAD_LU ; 16-byte Folded Reload
	s_wait_loadcnt 0x0
	v_mul_f32_e32 v24, v7, v43
	v_dual_mul_f32 v25, v7, v42 :: v_dual_mul_f32 v26, v9, v29
	s_delay_alu instid0(VALU_DEP_2) | instskip(NEXT) | instid1(VALU_DEP_2)
	v_dual_mul_f32 v27, v9, v28 :: v_dual_fmac_f32 v24, v6, v42
	v_fma_f32 v25, v6, v43, -v25
	s_delay_alu instid0(VALU_DEP_3) | instskip(NEXT) | instid1(VALU_DEP_3)
	v_fmac_f32_e32 v26, v8, v28
	v_fma_f32 v27, v8, v29, -v27
	scratch_load_b128 v[6:9], off, off offset:832 th:TH_LOAD_LU ; 16-byte Folded Reload
	v_mul_f32_e32 v42, v157, v80
	v_mul_f32_e32 v43, v149, v84
	s_delay_alu instid0(VALU_DEP_1) | instskip(SKIP_4) | instid1(VALU_DEP_3)
	v_fma_f32 v43, v148, v85, -v43
	s_wait_loadcnt 0x0
	v_mul_f32_e32 v28, v7, v32
	v_mul_f32_e32 v34, v7, v33
	;; [unrolled: 1-line block ×3, first 2 shown]
	v_fma_f32 v35, v6, v33, -v28
	v_mul_f32_e32 v28, v9, v48
	s_delay_alu instid0(VALU_DEP_4) | instskip(NEXT) | instid1(VALU_DEP_4)
	v_fmac_f32_e32 v34, v6, v32
	v_fmac_f32_e32 v31, v8, v48
	s_delay_alu instid0(VALU_DEP_3) | instskip(SKIP_3) | instid1(VALU_DEP_1)
	v_fma_f32 v33, v8, v49, -v28
	scratch_load_b128 v[6:9], off, off offset:852 th:TH_LOAD_LU ; 16-byte Folded Reload
	v_fma_f32 v49, v156, v81, -v42
	v_mul_f32_e32 v42, v159, v50
	v_fma_f32 v47, v158, v51, -v42
	v_mul_f32_e32 v42, v149, v85
	s_delay_alu instid0(VALU_DEP_1) | instskip(SKIP_4) | instid1(VALU_DEP_3)
	v_fmac_f32_e32 v42, v148, v84
	s_wait_loadcnt 0x0
	v_mul_f32_e32 v28, v7, v37
	v_dual_mul_f32 v29, v7, v36 :: v_dual_mul_f32 v30, v9, v59
	v_mul_f32_e32 v32, v9, v58
	v_fmac_f32_e32 v28, v6, v36
	s_delay_alu instid0(VALU_DEP_3) | instskip(NEXT) | instid1(VALU_DEP_4)
	v_fma_f32 v29, v6, v37, -v29
	v_fmac_f32_e32 v30, v8, v58
	s_delay_alu instid0(VALU_DEP_4)
	v_fma_f32 v32, v8, v59, -v32
	scratch_load_b128 v[6:9], off, off offset:868 th:TH_LOAD_LU ; 16-byte Folded Reload
	v_mul_f32_e32 v59, v195, v93
	v_mul_f32_e32 v58, v187, v103
	global_wb scope:SCOPE_SE
	s_wait_loadcnt 0x0
	s_barrier_signal -1
	s_barrier_wait -1
	v_fmac_f32_e32 v59, v194, v92
	v_fmac_f32_e32 v58, v186, v102
	global_inv scope:SCOPE_SE
	v_mul_f32_e32 v37, v7, v44
	v_dual_mul_f32 v36, v7, v45 :: v_dual_sub_f32 v7, v10, v243
	s_delay_alu instid0(VALU_DEP_2) | instskip(SKIP_2) | instid1(VALU_DEP_2)
	v_fma_f32 v37, v6, v45, -v37
	v_mul_f32_e32 v45, v159, v51
	v_mul_f32_e32 v51, v141, v88
	v_dual_fmac_f32 v45, v158, v50 :: v_dual_mul_f32 v50, v141, v89
	s_delay_alu instid0(VALU_DEP_2) | instskip(NEXT) | instid1(VALU_DEP_2)
	v_fma_f32 v51, v140, v89, -v51
	v_fmac_f32_e32 v50, v140, v88
	v_dual_mul_f32 v242, v39, v57 :: v_dual_mul_f32 v39, v9, v76
	v_mul_f32_e32 v57, v185, v86
	v_mul_f32_e32 v140, v153, v21
	s_delay_alu instid0(VALU_DEP_3)
	v_fmac_f32_e32 v242, v38, v56
	v_mul_f32_e32 v56, v193, v82
	v_fma_f32 v39, v8, v77, -v39
	v_fma_f32 v57, v184, v87, -v57
	v_fmac_f32_e32 v140, v152, v20
	v_mul_f32_e32 v82, v235, v65
	v_fma_f32 v63, v192, v83, -v56
	v_mul_f32_e32 v38, v9, v77
	v_mul_f32_e32 v56, v195, v92
	v_fma_f32 v77, v176, v91, -v66
	v_mul_f32_e32 v66, v179, v252
	v_mul_f32_e32 v83, v239, v55
	v_dual_sub_f32 v9, v121, v14 :: v_dual_fmac_f32 v82, v234, v64
	s_delay_alu instid0(VALU_DEP_3)
	v_fma_f32 v79, v178, v253, -v66
	v_fmac_f32_e32 v36, v6, v44
	v_mul_f32_e32 v44, v151, v61
	v_fma_f32 v61, v194, v93, -v56
	v_mul_f32_e32 v56, v185, v87
	v_fmac_f32_e32 v38, v8, v76
	v_mul_f32_e32 v76, v177, v91
	v_fmac_f32_e32 v44, v150, v60
	;; [unrolled: 2-line block ×4, first 2 shown]
	v_mul_f32_e32 v48, v157, v81
	v_fma_f32 v60, v186, v103, -v60
	v_sub_f32_e32 v6, v111, v242
	v_fmac_f32_e32 v86, v220, v0
	v_mul_f32_e32 v0, v221, v0
	v_fmac_f32_e32 v48, v156, v80
	v_mul_f32_e32 v80, v227, v94
	v_fmac_f32_e32 v83, v238, v54
	v_add_nc_u32_e32 v221, 0x1800, v98
	v_fma_f32 v87, v220, v1, -v0
	v_mul_f32_e32 v0, v223, v104
	v_fma_f32 v103, v226, v95, -v80
	v_mul_f32_e32 v80, v233, v3
	v_dual_add_f32 v1, v13, v41 :: v_dual_add_nc_u32 v220, 0x1000, v98
	s_delay_alu instid0(VALU_DEP_4) | instskip(SKIP_4) | instid1(VALU_DEP_4)
	v_fma_f32 v102, v222, v105, -v0
	v_mul_f32_e32 v100, v223, v105
	v_mul_f32_e32 v0, v213, v18
	v_fmac_f32_e32 v80, v232, v2
	v_dual_mul_f32 v90, v237, v109 :: v_dual_add_nc_u32 v223, 0x2800, v98
	v_fmac_f32_e32 v100, v222, v104
	s_delay_alu instid0(VALU_DEP_4) | instskip(SKIP_2) | instid1(VALU_DEP_2)
	v_fma_f32 v104, v212, v19, -v0
	v_mul_f32_e32 v0, v215, v254
	v_add_nc_u32_e32 v222, 0x2000, v98
	v_fma_f32 v105, v214, v255, -v0
	v_mul_f32_e32 v0, v237, v108
	v_dual_mul_f32 v110, v213, v19 :: v_dual_add_nc_u32 v213, 0x3000, v98
	s_delay_alu instid0(VALU_DEP_2) | instskip(SKIP_1) | instid1(VALU_DEP_3)
	v_fma_f32 v91, v236, v109, -v0
	v_mul_f32_e32 v0, v239, v54
	v_fmac_f32_e32 v110, v212, v18
	v_add_f32_e32 v18, v6, v9
	s_delay_alu instid0(VALU_DEP_3) | instskip(SKIP_2) | instid1(VALU_DEP_2)
	v_fma_f32 v89, v238, v55, -v0
	v_mul_f32_e32 v0, v233, v2
	v_sub_f32_e32 v2, v12, v40
	v_fma_f32 v81, v232, v3, -v0
	v_dual_mul_f32 v0, v235, v64 :: v_dual_sub_f32 v3, v13, v41
	v_add_f32_e32 v13, v243, v10
	s_delay_alu instid0(VALU_DEP_2) | instskip(SKIP_4) | instid1(VALU_DEP_4)
	v_fma_f32 v88, v234, v65, -v0
	v_mul_f32_e32 v0, v153, v20
	v_sub_f32_e32 v20, v6, v9
	v_sub_f32_e32 v6, v2, v6
	;; [unrolled: 1-line block ×3, first 2 shown]
	v_fma_f32 v141, v152, v21, -v0
	v_mul_f32_e32 v0, v155, v4
	v_add_f32_e32 v4, v121, v14
	v_add_f32_e32 v2, v18, v2
	v_mul_f32_e32 v20, 0x3f08b237, v20
	s_delay_alu instid0(VALU_DEP_4) | instskip(SKIP_3) | instid1(VALU_DEP_3)
	v_fma_f32 v143, v154, v5, -v0
	v_dual_add_f32 v0, v12, v40 :: v_dual_add_f32 v5, v11, v15
	v_add_f32_e32 v12, v242, v111
	v_dual_sub_f32 v11, v11, v15 :: v_dual_mul_f32 v40, 0x3f5ff5aa, v9
	v_add_f32_e32 v8, v4, v0
	s_delay_alu instid0(VALU_DEP_4)
	v_add_f32_e32 v10, v5, v1
	v_sub_f32_e32 v14, v4, v0
	v_sub_f32_e32 v0, v0, v12
	;; [unrolled: 1-line block ×3, first 2 shown]
	v_add_f32_e32 v8, v12, v8
	v_add_f32_e32 v10, v13, v10
	v_sub_f32_e32 v15, v5, v1
	v_sub_f32_e32 v1, v1, v13
	s_delay_alu instid0(VALU_DEP_4) | instskip(SKIP_3) | instid1(VALU_DEP_4)
	v_dual_sub_f32 v5, v13, v5 :: v_dual_add_f32 v12, v8, v68
	v_add_f32_e32 v19, v7, v11
	v_add_f32_e32 v13, v10, v69
	v_sub_f32_e32 v21, v7, v11
	v_dual_sub_f32 v7, v3, v7 :: v_dual_mov_b32 v54, v12
	v_sub_f32_e32 v11, v11, v3
	v_add_f32_e32 v3, v19, v3
	v_mul_f32_e32 v1, 0x3f4a47b2, v1
	v_dual_mul_f32 v18, 0x3d64c772, v4 :: v_dual_mul_f32 v19, 0x3d64c772, v5
	v_fmac_f32_e32 v54, 0xbf955555, v8
	v_mov_b32_e32 v8, v13
	v_mul_f32_e32 v0, 0x3f4a47b2, v0
	v_mul_f32_e32 v21, 0x3f08b237, v21
	v_fmamk_f32 v5, v5, 0x3d64c772, v1
	v_mul_f32_e32 v41, 0x3f5ff5aa, v11
	v_fmac_f32_e32 v8, 0xbf955555, v10
	v_fma_f32 v10, 0x3f3bfb3b, v14, -v18
	v_fma_f32 v18, 0x3f3bfb3b, v15, -v19
	v_fmamk_f32 v19, v6, 0xbeae86e6, v20
	v_fma_f32 v20, 0xbf5ff5aa, v9, -v20
	v_fmamk_f32 v4, v4, 0x3d64c772, v0
	v_fmamk_f32 v55, v7, 0xbeae86e6, v21
	v_fma_f32 v21, 0xbf5ff5aa, v11, -v21
	v_dual_fmac_f32 v40, 0x3eae86e6, v6 :: v_dual_add_f32 v65, v5, v8
	v_dual_add_f32 v5, v18, v8 :: v_dual_fmac_f32 v20, 0xbee1c552, v2
	v_fma_f32 v1, 0xbf3bfb3b, v15, -v1
	v_dual_fmac_f32 v41, 0x3eae86e6, v7 :: v_dual_add_f32 v64, v4, v54
	v_add_f32_e32 v4, v10, v54
	v_fmac_f32_e32 v19, 0xbee1c552, v2
	v_dual_fmac_f32 v21, 0xbee1c552, v3 :: v_dual_fmac_f32 v40, 0xbee1c552, v2
	v_add_f32_e32 v11, v20, v5
	v_dual_sub_f32 v5, v5, v20 :: v_dual_add_f32 v2, v22, v26
	v_add_f32_e32 v20, v97, v24
	v_add_f32_e32 v1, v1, v8
	v_fmac_f32_e32 v55, 0xbee1c552, v3
	v_dual_fmac_f32 v41, 0xbee1c552, v3 :: v_dual_sub_f32 v10, v4, v21
	v_dual_add_f32 v4, v21, v4 :: v_dual_add_f32 v3, v23, v27
	v_sub_f32_e32 v18, v22, v26
	v_dual_add_f32 v21, v126, v25 :: v_dual_sub_f32 v22, v97, v24
	v_add_f32_e32 v24, v16, v96
	v_add_f32_e32 v26, v20, v2
	v_fma_f32 v0, 0xbf3bfb3b, v14, -v0
	v_sub_f32_e32 v15, v65, v19
	v_sub_f32_e32 v9, v1, v40
	v_add_f32_e32 v7, v40, v1
	v_add_f32_e32 v1, v19, v65
	v_sub_f32_e32 v19, v23, v27
	v_sub_f32_e32 v23, v126, v25
	v_add_f32_e32 v25, v17, v99
	v_dual_add_f32 v27, v21, v3 :: v_dual_add_f32 v26, v24, v26
	v_add_f32_e32 v0, v0, v54
	v_sub_f32_e32 v16, v96, v16
	v_sub_f32_e32 v40, v20, v2
	v_sub_f32_e32 v2, v2, v24
	v_dual_sub_f32 v20, v24, v20 :: v_dual_add_f32 v27, v25, v27
	v_add_f32_e32 v24, v26, v70
	v_add_f32_e32 v14, v55, v64
	;; [unrolled: 1-line block ×3, first 2 shown]
	v_sub_f32_e32 v6, v0, v41
	v_dual_sub_f32 v0, v64, v55 :: v_dual_sub_f32 v17, v99, v17
	v_sub_f32_e32 v41, v21, v3
	v_sub_f32_e32 v3, v3, v25
	v_dual_sub_f32 v21, v25, v21 :: v_dual_add_f32 v54, v16, v22
	v_sub_f32_e32 v64, v16, v22
	v_dual_sub_f32 v22, v22, v18 :: v_dual_add_f32 v25, v27, v71
	v_dual_mov_b32 v70, v24 :: v_dual_add_f32 v55, v17, v23
	v_dual_sub_f32 v65, v17, v23 :: v_dual_sub_f32 v16, v18, v16
	v_dual_sub_f32 v23, v23, v19 :: v_dual_add_f32 v18, v54, v18
	v_dual_mul_f32 v2, 0x3f4a47b2, v2 :: v_dual_mul_f32 v3, 0x3f4a47b2, v3
	v_mul_f32_e32 v54, 0x3d64c772, v20
	v_mul_f32_e32 v64, 0x3f08b237, v64
	;; [unrolled: 1-line block ×3, first 2 shown]
	v_fmac_f32_e32 v70, 0xbf955555, v26
	v_dual_mov_b32 v26, v25 :: v_dual_sub_f32 v17, v19, v17
	v_add_f32_e32 v19, v55, v19
	v_mul_f32_e32 v55, 0x3d64c772, v21
	v_mul_f32_e32 v65, 0x3f08b237, v65
	;; [unrolled: 1-line block ×3, first 2 shown]
	v_fmac_f32_e32 v26, 0xbf955555, v27
	v_dual_fmamk_f32 v20, v20, 0x3d64c772, v2 :: v_dual_fmamk_f32 v21, v21, 0x3d64c772, v3
	v_fma_f32 v27, 0x3f3bfb3b, v40, -v54
	v_fma_f32 v2, 0xbf3bfb3b, v40, -v2
	;; [unrolled: 1-line block ×3, first 2 shown]
	v_fmamk_f32 v40, v16, 0xbeae86e6, v64
	v_fmac_f32_e32 v68, 0x3eae86e6, v16
	v_fma_f32 v54, 0x3f3bfb3b, v41, -v55
	v_fmamk_f32 v41, v17, 0xbeae86e6, v65
	v_fma_f32 v55, 0xbf5ff5aa, v22, -v64
	v_fma_f32 v64, 0xbf5ff5aa, v23, -v65
	v_fmac_f32_e32 v69, 0x3eae86e6, v17
	v_add_f32_e32 v71, v21, v26
	v_add_f32_e32 v3, v3, v26
	v_fmac_f32_e32 v40, 0xbee1c552, v18
	v_fmac_f32_e32 v68, 0xbee1c552, v18
	v_add_f32_e32 v65, v20, v70
	v_add_f32_e32 v16, v27, v70
	v_dual_add_f32 v2, v2, v70 :: v_dual_fmac_f32 v41, 0xbee1c552, v19
	v_fmac_f32_e32 v64, 0xbee1c552, v19
	v_fmac_f32_e32 v69, 0xbee1c552, v19
	v_sub_f32_e32 v27, v71, v40
	v_sub_f32_e32 v21, v3, v68
	v_add_f32_e32 v19, v68, v3
	v_dual_add_f32 v3, v40, v71 :: v_dual_add_f32 v40, v34, v38
	v_sub_f32_e32 v34, v34, v38
	v_dual_add_f32 v38, v31, v36 :: v_dual_add_f32 v17, v54, v26
	v_dual_fmac_f32 v55, 0xbee1c552, v18 :: v_dual_add_f32 v26, v41, v65
	v_add_f32_e32 v20, v69, v2
	v_sub_f32_e32 v18, v2, v69
	v_dual_sub_f32 v2, v65, v41 :: v_dual_add_f32 v41, v35, v39
	v_sub_f32_e32 v35, v35, v39
	v_add_f32_e32 v39, v33, v37
	v_dual_sub_f32 v31, v31, v36 :: v_dual_add_f32 v36, v28, v30
	v_sub_f32_e32 v28, v30, v28
	v_add_f32_e32 v30, v38, v40
	v_sub_f32_e32 v22, v16, v64
	v_dual_add_f32 v16, v64, v16 :: v_dual_sub_f32 v33, v33, v37
	v_add_f32_e32 v37, v29, v32
	v_sub_f32_e32 v29, v32, v29
	v_add_f32_e32 v32, v39, v41
	v_sub_f32_e32 v54, v38, v40
	v_sub_f32_e32 v64, v36, v38
	v_add_f32_e32 v38, v28, v31
	v_dual_add_f32 v30, v36, v30 :: v_dual_add_f32 v23, v55, v17
	v_sub_f32_e32 v17, v17, v55
	v_sub_f32_e32 v55, v39, v41
	;; [unrolled: 1-line block ×3, first 2 shown]
	v_dual_add_f32 v39, v29, v33 :: v_dual_sub_f32 v68, v28, v31
	v_dual_sub_f32 v28, v34, v28 :: v_dual_sub_f32 v31, v31, v34
	v_add_f32_e32 v32, v37, v32
	v_add_f32_e32 v34, v38, v34
	;; [unrolled: 1-line block ×3, first 2 shown]
	v_dual_sub_f32 v40, v40, v36 :: v_dual_sub_f32 v41, v41, v37
	v_sub_f32_e32 v69, v29, v33
	v_sub_f32_e32 v29, v35, v29
	;; [unrolled: 1-line block ×3, first 2 shown]
	v_add_f32_e32 v35, v39, v35
	v_dual_add_f32 v39, v32, v249 :: v_dual_mov_b32 v84, v38
	v_dual_mul_f32 v36, 0x3f4a47b2, v40 :: v_dual_mul_f32 v37, 0x3f4a47b2, v41
	v_mul_f32_e32 v40, 0x3d64c772, v64
	v_mul_f32_e32 v68, 0x3f08b237, v68
	s_delay_alu instid0(VALU_DEP_4) | instskip(SKIP_4) | instid1(VALU_DEP_4)
	v_fmac_f32_e32 v84, 0xbf955555, v30
	v_dual_mov_b32 v30, v39 :: v_dual_mul_f32 v41, 0x3d64c772, v65
	v_mul_f32_e32 v69, 0x3f08b237, v69
	v_mul_f32_e32 v71, 0x3f5ff5aa, v33
	v_fma_f32 v40, 0x3f3bfb3b, v54, -v40
	v_fmac_f32_e32 v30, 0xbf955555, v32
	v_fmamk_f32 v32, v64, 0x3d64c772, v36
	v_fmamk_f32 v64, v65, 0x3d64c772, v37
	v_fma_f32 v36, 0xbf3bfb3b, v54, -v36
	v_fmamk_f32 v54, v28, 0xbeae86e6, v68
	v_mul_f32_e32 v70, 0x3f5ff5aa, v31
	v_fma_f32 v41, 0x3f3bfb3b, v55, -v41
	v_fma_f32 v37, 0xbf3bfb3b, v55, -v37
	v_fmamk_f32 v55, v29, 0xbeae86e6, v69
	v_fmac_f32_e32 v71, 0x3eae86e6, v29
	v_add_f32_e32 v29, v64, v30
	v_fmac_f32_e32 v54, 0xbee1c552, v34
	v_fma_f32 v31, 0xbf5ff5aa, v31, -v68
	v_fma_f32 v33, 0xbf5ff5aa, v33, -v69
	v_fmac_f32_e32 v70, 0x3eae86e6, v28
	v_add_f32_e32 v28, v32, v84
	v_dual_add_f32 v64, v41, v30 :: v_dual_fmac_f32 v55, 0xbee1c552, v35
	v_sub_f32_e32 v41, v29, v54
	v_dual_add_f32 v29, v54, v29 :: v_dual_add_f32 v54, v48, v52
	v_sub_f32_e32 v48, v48, v52
	v_add_f32_e32 v52, v45, v50
	v_add_f32_e32 v32, v40, v84
	;; [unrolled: 1-line block ×3, first 2 shown]
	v_fmac_f32_e32 v31, 0xbee1c552, v34
	v_dual_fmac_f32 v33, 0xbee1c552, v35 :: v_dual_fmac_f32 v70, 0xbee1c552, v34
	v_add_f32_e32 v40, v55, v28
	v_dual_sub_f32 v28, v28, v55 :: v_dual_add_f32 v55, v49, v53
	v_sub_f32_e32 v49, v49, v53
	v_add_f32_e32 v53, v47, v51
	v_dual_sub_f32 v45, v45, v50 :: v_dual_add_f32 v50, v42, v44
	v_sub_f32_e32 v42, v44, v42
	v_add_f32_e32 v44, v52, v54
	v_add_f32_e32 v65, v36, v84
	v_fmac_f32_e32 v71, 0xbee1c552, v35
	v_sub_f32_e32 v35, v68, v70
	v_dual_sub_f32 v36, v32, v33 :: v_dual_add_f32 v37, v31, v64
	v_dual_add_f32 v30, v33, v32 :: v_dual_sub_f32 v31, v64, v31
	v_add_f32_e32 v33, v70, v68
	v_sub_f32_e32 v47, v47, v51
	v_add_f32_e32 v51, v43, v46
	v_sub_f32_e32 v43, v46, v43
	v_add_f32_e32 v46, v53, v55
	v_sub_f32_e32 v64, v52, v54
	v_sub_f32_e32 v68, v50, v52
	v_add_f32_e32 v52, v42, v45
	v_add_f32_e32 v44, v50, v44
	;; [unrolled: 1-line block ×3, first 2 shown]
	v_sub_f32_e32 v32, v65, v71
	v_sub_f32_e32 v65, v53, v55
	;; [unrolled: 1-line block ×3, first 2 shown]
	v_dual_add_f32 v53, v43, v47 :: v_dual_sub_f32 v70, v42, v45
	v_dual_sub_f32 v42, v48, v42 :: v_dual_sub_f32 v45, v45, v48
	v_add_f32_e32 v46, v51, v46
	v_add_f32_e32 v48, v52, v48
	;; [unrolled: 1-line block ×3, first 2 shown]
	v_dual_sub_f32 v54, v54, v50 :: v_dual_sub_f32 v71, v43, v47
	v_sub_f32_e32 v43, v49, v43
	v_sub_f32_e32 v47, v47, v49
	v_add_f32_e32 v49, v53, v49
	v_dual_add_f32 v53, v46, v251 :: v_dual_mov_b32 v92, v52
	v_dual_sub_f32 v55, v55, v51 :: v_dual_mul_f32 v50, 0x3f4a47b2, v54
	v_mul_f32_e32 v54, 0x3d64c772, v68
	v_mul_f32_e32 v71, 0x3f08b237, v71
	;; [unrolled: 1-line block ×3, first 2 shown]
	v_fmac_f32_e32 v92, 0xbf955555, v44
	v_dual_mov_b32 v44, v53 :: v_dual_mul_f32 v51, 0x3f4a47b2, v55
	v_mul_f32_e32 v55, 0x3d64c772, v69
	v_mul_f32_e32 v70, 0x3f08b237, v70
	;; [unrolled: 1-line block ×3, first 2 shown]
	s_delay_alu instid0(VALU_DEP_4)
	v_fmac_f32_e32 v44, 0xbf955555, v46
	v_fmamk_f32 v46, v68, 0x3d64c772, v50
	v_fma_f32 v54, 0x3f3bfb3b, v64, -v54
	v_fma_f32 v50, 0xbf3bfb3b, v64, -v50
	;; [unrolled: 1-line block ×3, first 2 shown]
	v_fmac_f32_e32 v85, 0x3eae86e6, v43
	v_fmamk_f32 v68, v69, 0x3d64c772, v51
	v_fma_f32 v55, 0x3f3bfb3b, v65, -v55
	v_fma_f32 v51, 0xbf3bfb3b, v65, -v51
	v_dual_fmamk_f32 v64, v42, 0xbeae86e6, v70 :: v_dual_fmamk_f32 v65, v43, 0xbeae86e6, v71
	v_fma_f32 v45, 0xbf5ff5aa, v45, -v70
	v_fmac_f32_e32 v84, 0x3eae86e6, v42
	v_add_f32_e32 v42, v46, v92
	v_add_f32_e32 v46, v54, v92
	;; [unrolled: 1-line block ×3, first 2 shown]
	v_fmac_f32_e32 v47, 0xbee1c552, v49
	v_fmac_f32_e32 v85, 0xbee1c552, v49
	v_add_f32_e32 v43, v68, v44
	v_add_f32_e32 v68, v55, v44
	;; [unrolled: 1-line block ×3, first 2 shown]
	v_dual_fmac_f32 v64, 0xbee1c552, v48 :: v_dual_fmac_f32 v65, 0xbee1c552, v49
	v_fmac_f32_e32 v45, 0xbee1c552, v48
	v_fmac_f32_e32 v84, 0xbee1c552, v48
	v_add_f32_e32 v48, v85, v69
	v_sub_f32_e32 v50, v46, v47
	v_add_f32_e32 v44, v47, v46
	v_sub_f32_e32 v46, v69, v85
	v_add_f32_e32 v69, v61, v77
	v_sub_f32_e32 v61, v61, v77
	v_add_f32_e32 v71, v57, v60
	v_dual_sub_f32 v57, v60, v57 :: v_dual_add_f32 v54, v65, v42
	v_dual_sub_f32 v42, v42, v65 :: v_dual_add_f32 v65, v63, v79
	v_sub_f32_e32 v63, v63, v79
	s_delay_alu instid0(VALU_DEP_3)
	v_sub_f32_e32 v85, v57, v61
	v_add_f32_e32 v79, v57, v61
	v_sub_f32_e32 v55, v43, v64
	v_add_f32_e32 v51, v45, v68
	v_sub_f32_e32 v61, v61, v63
	v_mul_f32_e32 v85, 0x3f08b237, v85
	v_sub_f32_e32 v57, v63, v57
	v_add_f32_e32 v63, v79, v63
	v_sub_f32_e32 v45, v68, v45
	v_mul_f32_e32 v93, 0x3f5ff5aa, v61
	v_fma_f32 v61, 0xbf5ff5aa, v61, -v85
	v_dual_add_f32 v43, v64, v43 :: v_dual_add_f32 v64, v62, v78
	v_sub_f32_e32 v49, v70, v84
	v_add_f32_e32 v47, v84, v70
	s_delay_alu instid0(VALU_DEP_4)
	v_dual_fmac_f32 v61, 0xbee1c552, v63 :: v_dual_add_f32 v68, v59, v76
	v_sub_f32_e32 v59, v59, v76
	v_fmamk_f32 v95, v57, 0xbeae86e6, v85
	v_dual_fmac_f32 v93, 0x3eae86e6, v57 :: v_dual_add_f32 v70, v56, v58
	v_sub_f32_e32 v56, v58, v56
	v_add_f32_e32 v58, v68, v64
	v_sub_f32_e32 v62, v62, v78
	v_add_f32_e32 v60, v69, v65
	;; [unrolled: 2-line block ×3, first 2 shown]
	v_add_f32_e32 v58, v70, v58
	v_sub_f32_e32 v84, v56, v59
	v_dual_sub_f32 v56, v62, v56 :: v_dual_sub_f32 v59, v59, v62
	v_add_f32_e32 v60, v71, v60
	v_add_f32_e32 v62, v78, v62
	v_dual_add_f32 v78, v58, v244 :: v_dual_sub_f32 v77, v69, v65
	v_dual_sub_f32 v64, v64, v70 :: v_dual_sub_f32 v65, v65, v71
	s_delay_alu instid0(VALU_DEP_4) | instskip(NEXT) | instid1(VALU_DEP_3)
	v_dual_sub_f32 v68, v70, v68 :: v_dual_add_f32 v79, v60, v245
	v_dual_mov_b32 v94, v78 :: v_dual_sub_f32 v69, v71, v69
	s_delay_alu instid0(VALU_DEP_3) | instskip(NEXT) | instid1(VALU_DEP_3)
	v_dual_mul_f32 v64, 0x3f4a47b2, v64 :: v_dual_mul_f32 v65, 0x3f4a47b2, v65
	v_mul_f32_e32 v70, 0x3d64c772, v68
	v_mul_f32_e32 v92, 0x3f5ff5aa, v59
	s_delay_alu instid0(VALU_DEP_4) | instskip(SKIP_2) | instid1(VALU_DEP_4)
	v_fmac_f32_e32 v94, 0xbf955555, v58
	v_dual_mov_b32 v58, v79 :: v_dual_mul_f32 v71, 0x3d64c772, v69
	v_mul_f32_e32 v84, 0x3f08b237, v84
	v_fmac_f32_e32 v92, 0x3eae86e6, v56
	v_fmac_f32_e32 v95, 0xbee1c552, v63
	s_delay_alu instid0(VALU_DEP_4)
	v_fmac_f32_e32 v58, 0xbf955555, v60
	v_fmamk_f32 v60, v68, 0x3d64c772, v64
	v_fmamk_f32 v68, v69, 0x3d64c772, v65
	v_fma_f32 v69, 0x3f3bfb3b, v76, -v70
	v_fma_f32 v65, 0xbf3bfb3b, v77, -v65
	;; [unrolled: 1-line block ×4, first 2 shown]
	v_fmamk_f32 v71, v56, 0xbeae86e6, v84
	v_fma_f32 v59, 0xbf5ff5aa, v59, -v84
	v_add_f32_e32 v56, v60, v94
	v_add_f32_e32 v60, v69, v94
	;; [unrolled: 1-line block ×3, first 2 shown]
	v_fmac_f32_e32 v92, 0xbee1c552, v62
	v_add_f32_e32 v57, v68, v58
	v_add_f32_e32 v68, v70, v58
	v_add_f32_e32 v64, v64, v94
	v_dual_fmac_f32 v59, 0xbee1c552, v62 :: v_dual_mul_f32 v66, v225, v107
	v_fmac_f32_e32 v93, 0xbee1c552, v63
	v_dual_sub_f32 v63, v65, v92 :: v_dual_sub_f32 v76, v60, v61
	v_dual_add_f32 v58, v61, v60 :: v_dual_add_f32 v61, v92, v65
	v_add_f32_e32 v65, v67, v105
	v_add_f32_e32 v69, v103, v104
	v_dual_mul_f32 v120, v215, v255 :: v_dual_fmac_f32 v71, 0xbee1c552, v62
	v_add_f32_e32 v62, v93, v64
	v_dual_add_f32 v77, v59, v68 :: v_dual_fmac_f32 v66, v224, v106
	v_dual_sub_f32 v60, v64, v93 :: v_dual_add_f32 v93, v87, v102
	s_delay_alu instid0(VALU_DEP_4)
	v_dual_sub_f32 v97, v69, v65 :: v_dual_fmac_f32 v120, v214, v254
	v_dual_add_f32 v84, v95, v56 :: v_dual_sub_f32 v85, v57, v71
	v_sub_f32_e32 v59, v68, v59
	v_sub_f32_e32 v56, v56, v95
	v_add_f32_e32 v68, v101, v110
	v_add_f32_e32 v95, v69, v65
	v_dual_sub_f32 v65, v65, v93 :: v_dual_add_f32 v64, v66, v120
	v_dual_add_f32 v57, v71, v57 :: v_dual_add_f32 v92, v86, v100
	v_sub_f32_e32 v70, v101, v110
	v_sub_f32_e32 v86, v100, v86
	s_delay_alu instid0(VALU_DEP_4)
	v_add_f32_e32 v94, v68, v64
	v_sub_f32_e32 v96, v68, v64
	v_sub_f32_e32 v64, v64, v92
	;; [unrolled: 1-line block ×3, first 2 shown]
	v_dual_fmac_f32 v90, v236, v108 :: v_dual_add_f32 v99, v86, v70
	v_add_f32_e32 v92, v92, v94
	v_dual_sub_f32 v66, v66, v120 :: v_dual_sub_f32 v69, v93, v69
	v_sub_f32_e32 v101, v86, v70
	s_delay_alu instid0(VALU_DEP_3)
	v_dual_add_f32 v93, v93, v95 :: v_dual_add_f32 v120, v92, v246
	v_sub_f32_e32 v67, v67, v105
	v_sub_f32_e32 v71, v103, v104
	;; [unrolled: 1-line block ×5, first 2 shown]
	v_dual_add_f32 v66, v99, v66 :: v_dual_add_f32 v121, v93, v247
	v_mul_f32_e32 v99, 0x3f08b237, v101
	v_dual_mov_b32 v101, v120 :: v_dual_add_f32 v100, v87, v71
	v_sub_f32_e32 v102, v87, v71
	v_dual_sub_f32 v71, v71, v67 :: v_dual_mul_f32 v94, 0x3d64c772, v68
	v_mul_f32_e32 v95, 0x3d64c772, v69
	s_delay_alu instid0(VALU_DEP_4)
	v_dual_fmac_f32 v101, 0xbf955555, v92 :: v_dual_mov_b32 v92, v121
	v_sub_f32_e32 v87, v67, v87
	v_dual_add_f32 v67, v100, v67 :: v_dual_mul_f32 v64, 0x3f4a47b2, v64
	v_mul_f32_e32 v100, 0x3f08b237, v102
	v_dual_mul_f32 v103, 0x3f5ff5aa, v70 :: v_dual_mul_f32 v102, 0x3f5ff5aa, v71
	v_fmac_f32_e32 v92, 0xbf955555, v93
	v_fma_f32 v93, 0x3f3bfb3b, v96, -v94
	v_fma_f32 v94, 0x3f3bfb3b, v97, -v95
	;; [unrolled: 1-line block ×3, first 2 shown]
	v_mul_f32_e32 v65, 0x3f4a47b2, v65
	v_fmamk_f32 v68, v68, 0x3d64c772, v64
	v_fma_f32 v64, 0xbf3bfb3b, v96, -v64
	v_dual_fmamk_f32 v95, v86, 0xbeae86e6, v99 :: v_dual_fmamk_f32 v96, v87, 0xbeae86e6, v100
	v_fma_f32 v71, 0xbf5ff5aa, v71, -v100
	v_dual_fmac_f32 v103, 0x3eae86e6, v86 :: v_dual_fmac_f32 v102, 0x3eae86e6, v87
	v_dual_add_f32 v87, v94, v92 :: v_dual_fmac_f32 v70, 0xbee1c552, v66
	v_dual_fmamk_f32 v69, v69, 0x3d64c772, v65 :: v_dual_add_f32 v68, v68, v101
	v_add_f32_e32 v86, v93, v101
	v_add_f32_e32 v93, v64, v101
	v_dual_fmac_f32 v95, 0xbee1c552, v66 :: v_dual_fmac_f32 v96, 0xbee1c552, v67
	v_fmac_f32_e32 v71, 0xbee1c552, v67
	v_fmac_f32_e32 v103, 0xbee1c552, v66
	v_add_f32_e32 v111, v70, v87
	v_sub_f32_e32 v101, v87, v70
	v_add_f32_e32 v66, v90, v142
	v_add_f32_e32 v70, v83, v140
	v_fma_f32 v65, 0xbf3bfb3b, v97, -v65
	v_add_f32_e32 v69, v69, v92
	v_add_f32_e32 v64, v96, v68
	v_sub_f32_e32 v110, v86, v71
	v_add_f32_e32 v100, v71, v86
	v_sub_f32_e32 v86, v68, v96
	v_sub_f32_e32 v68, v90, v142
	v_add_f32_e32 v90, v80, v82
	v_sub_f32_e32 v80, v82, v80
	v_add_f32_e32 v82, v70, v66
	v_add_f32_e32 v92, v65, v92
	v_fmac_f32_e32 v102, 0xbee1c552, v67
	v_sub_f32_e32 v65, v69, v95
	v_add_f32_e32 v87, v95, v69
	v_add_f32_e32 v67, v91, v143
	v_sub_f32_e32 v69, v91, v143
	v_add_f32_e32 v71, v89, v141
	v_sub_f32_e32 v89, v89, v141
	v_add_f32_e32 v91, v81, v88
	v_dual_sub_f32 v81, v88, v81 :: v_dual_add_f32 v82, v90, v82
	v_sub_f32_e32 v109, v92, v103
	v_add_f32_e32 v103, v103, v92
	v_add_f32_e32 v88, v71, v67
	v_sub_f32_e32 v92, v70, v66
	v_dual_sub_f32 v66, v66, v90 :: v_dual_add_f32 v95, v81, v89
	v_sub_f32_e32 v97, v81, v89
	v_dual_sub_f32 v89, v89, v69 :: v_dual_add_f32 v150, v82, v240
	v_dual_sub_f32 v83, v83, v140 :: v_dual_sub_f32 v70, v90, v70
	v_dual_sub_f32 v81, v69, v81 :: v_dual_add_f32 v88, v91, v88
	v_dual_add_f32 v69, v95, v69 :: v_dual_mul_f32 v66, 0x3f4a47b2, v66
	v_mul_f32_e32 v95, 0x3f08b237, v97
	v_mul_f32_e32 v97, 0x3f5ff5aa, v89
	v_mov_b32_e32 v99, v150
	v_add_f32_e32 v108, v102, v93
	v_dual_sub_f32 v102, v93, v102 :: v_dual_sub_f32 v93, v71, v67
	v_sub_f32_e32 v71, v91, v71
	v_add_f32_e32 v94, v80, v83
	v_dual_sub_f32 v96, v80, v83 :: v_dual_sub_f32 v83, v83, v68
	v_dual_add_f32 v151, v88, v241 :: v_dual_mul_f32 v90, 0x3d64c772, v70
	v_fmac_f32_e32 v99, 0xbf955555, v82
	v_fmamk_f32 v70, v70, 0x3d64c772, v66
	v_fma_f32 v66, 0xbf3bfb3b, v92, -v66
	v_fmac_f32_e32 v97, 0x3eae86e6, v81
	v_dual_sub_f32 v67, v67, v91 :: v_dual_sub_f32 v80, v68, v80
	v_dual_add_f32 v68, v94, v68 :: v_dual_mul_f32 v91, 0x3d64c772, v71
	v_mul_f32_e32 v94, 0x3f08b237, v96
	v_mul_f32_e32 v96, 0x3f5ff5aa, v83
	v_mov_b32_e32 v82, v151
	v_dual_add_f32 v66, v66, v99 :: v_dual_fmac_f32 v97, 0xbee1c552, v69
	v_mul_f32_e32 v67, 0x3f4a47b2, v67
	s_delay_alu instid0(VALU_DEP_4) | instskip(NEXT) | instid1(VALU_DEP_4)
	v_fmac_f32_e32 v96, 0x3eae86e6, v80
	v_fmac_f32_e32 v82, 0xbf955555, v88
	v_fma_f32 v88, 0x3f3bfb3b, v92, -v90
	v_fma_f32 v90, 0x3f3bfb3b, v93, -v91
	v_dual_fmamk_f32 v91, v80, 0xbeae86e6, v94 :: v_dual_add_f32 v80, v97, v66
	v_sub_f32_e32 v148, v66, v97
	scratch_load_b32 v66, off, off offset:724 th:TH_LOAD_LU ; 4-byte Folded Reload
	v_fmamk_f32 v71, v71, 0x3d64c772, v67
	s_wait_loadcnt 0x0
	ds_store_2addr_b64 v66, v[12:13], v[14:15] offset1:7
	ds_store_2addr_b64 v66, v[8:9], v[10:11] offset0:14 offset1:21
	ds_store_2addr_b64 v66, v[4:5], v[6:7] offset0:28 offset1:35
	ds_store_b64 v66, v[0:1] offset:336
	scratch_load_b32 v0, off, off offset:728 th:TH_LOAD_LU ; 4-byte Folded Reload
	v_add_nc_u32_e32 v225, 0x3400, v98
	v_add_nc_u32_e32 v215, 0x3800, v98
	s_wait_loadcnt 0x0
	ds_store_2addr_b64 v0, v[24:25], v[26:27] offset1:7
	ds_store_2addr_b64 v0, v[20:21], v[22:23] offset0:14 offset1:21
	ds_store_2addr_b64 v0, v[16:17], v[18:19] offset0:28 offset1:35
	ds_store_b64 v0, v[2:3] offset:336
	scratch_load_b32 v0, off, off offset:748 th:TH_LOAD_LU ; 4-byte Folded Reload
	s_wait_loadcnt 0x0
	ds_store_2addr_b64 v0, v[38:39], v[40:41] offset1:7
	ds_store_2addr_b64 v0, v[34:35], v[36:37] offset0:14 offset1:21
	ds_store_2addr_b64 v0, v[30:31], v[32:33] offset0:28 offset1:35
	ds_store_b64 v0, v[28:29] offset:336
	scratch_load_b32 v0, off, off offset:756 th:TH_LOAD_LU ; 4-byte Folded Reload
	;; [unrolled: 6-line block ×5, first 2 shown]
	v_fmamk_f32 v92, v81, 0xbeae86e6, v95
	v_fma_f32 v67, 0xbf3bfb3b, v93, -v67
	v_fma_f32 v93, 0xbf5ff5aa, v83, -v94
	;; [unrolled: 1-line block ×3, first 2 shown]
	v_dual_add_f32 v70, v70, v99 :: v_dual_add_f32 v71, v71, v82
	v_dual_fmac_f32 v91, 0xbee1c552, v68 :: v_dual_fmac_f32 v92, 0xbee1c552, v69
	v_add_f32_e32 v88, v88, v99
	v_add_f32_e32 v90, v90, v82
	;; [unrolled: 1-line block ×3, first 2 shown]
	v_fmac_f32_e32 v93, 0xbee1c552, v68
	v_dual_fmac_f32 v89, 0xbee1c552, v69 :: v_dual_fmac_f32 v96, 0xbee1c552, v68
	v_dual_add_f32 v152, v92, v70 :: v_dual_sub_f32 v153, v71, v91
	s_delay_alu instid0(VALU_DEP_2) | instskip(NEXT) | instid1(VALU_DEP_3)
	v_dual_add_f32 v83, v93, v90 :: v_dual_sub_f32 v82, v88, v89
	v_sub_f32_e32 v81, v67, v96
	v_dual_add_f32 v142, v89, v88 :: v_dual_sub_f32 v143, v90, v93
	v_dual_add_f32 v149, v96, v67 :: v_dual_sub_f32 v140, v70, v92
	v_add_f32_e32 v141, v91, v71
	s_wait_loadcnt 0x0
	ds_store_2addr_b64 v0, v[150:151], v[152:153] offset1:7
	ds_store_2addr_b64 v0, v[80:81], v[82:83] offset0:14 offset1:21
	ds_store_2addr_b64 v0, v[142:143], v[148:149] offset0:28 offset1:35
	ds_store_b64 v0, v[140:141] offset:336
	global_wb scope:SCOPE_SE
	s_wait_dscnt 0x0
	s_barrier_signal -1
	s_barrier_wait -1
	global_inv scope:SCOPE_SE
	ds_load_2addr_b64 v[10:13], v220 offset0:174 offset1:223
	v_add_nc_u32_e32 v224, 0x1c00, v98
	ds_load_2addr_b64 v[14:17], v223 offset0:92 offset1:141
	v_add_nc_u32_e32 v214, 0x800, v98
	ds_load_2addr_b64 v[4:7], v98 offset1:49
	v_add_nc_u32_e32 v126, 0xc00, v98
	ds_load_2addr_b64 v[66:69], v224 offset0:84 offset1:133
	ds_load_2addr_b64 v[28:31], v214 offset0:38 offset1:87
	;; [unrolled: 1-line block ×19, first 2 shown]
	s_wait_dscnt 0x15
	v_mul_f32_e32 v61, v75, v11
	s_wait_dscnt 0x14
	s_delay_alu instid0(VALU_DEP_1)
	v_dual_mul_f32 v60, v119, v15 :: v_dual_fmac_f32 v61, v74, v10
	v_mul_f32_e32 v10, v75, v10
	s_wait_dscnt 0x10
	v_mul_f32_e32 v86, v123, v91
	s_wait_dscnt 0xf
	v_dual_mul_f32 v101, v125, v19 :: v_dual_fmac_f32 v60, v118, v14
	v_mul_f32_e32 v58, v117, v69
	v_fma_f32 v63, v74, v11, -v10
	s_delay_alu instid0(VALU_DEP_3) | instskip(SKIP_1) | instid1(VALU_DEP_4)
	v_dual_mul_f32 v10, v117, v68 :: v_dual_fmac_f32 v101, v124, v18
	v_mul_f32_e32 v78, v73, v31
	v_fmac_f32_e32 v58, v116, v68
	v_mul_f32_e32 v26, v73, v30
	s_delay_alu instid0(VALU_DEP_4)
	v_fma_f32 v59, v116, v69, -v10
	v_mul_f32_e32 v10, v119, v14
	s_wait_dscnt 0xe
	v_mul_f32_e32 v94, v73, v23
	s_wait_dscnt 0xa
	v_mul_f32_e32 v57, v139, v47
	v_dual_mul_f32 v45, v175, v49 :: v_dual_fmac_f32 v78, v72, v30
	v_fma_f32 v62, v118, v15, -v10
	v_mul_f32_e32 v10, v123, v90
	v_fma_f32 v79, v72, v31, -v26
	s_delay_alu instid0(VALU_DEP_4) | instskip(SKIP_1) | instid1(VALU_DEP_4)
	v_dual_fmac_f32 v45, v174, v48 :: v_dual_fmac_f32 v94, v72, v22
	v_mul_f32_e32 v26, v231, v66
	v_fma_f32 v87, v122, v91, -v10
	v_mul_f32_e32 v10, v125, v18
	s_wait_dscnt 0x2
	v_mul_f32_e32 v18, v207, v155
	v_dual_mul_f32 v91, v75, v13 :: v_dual_mul_f32 v44, v173, v104
	v_mul_f32_e32 v54, v167, v83
	v_fma_f32 v102, v124, v19, -v10
	v_mul_f32_e32 v10, v73, v22
	v_fmac_f32_e32 v18, v206, v154
	v_dual_mov_b32 v212, v127 :: v_dual_add_nc_u32 v127, 0x2400, v98
	ds_load_2addr_b64 v[184:187], v127 offset0:122 offset1:171
	ds_load_2addr_b64 v[192:195], v215 offset0:168 offset1:217
	ds_load_b64 v[8:9], v98 offset:18816
	v_fma_f32 v95, v72, v23, -v10
	v_mul_f32_e32 v10, v75, v12
	v_dual_fmac_f32 v91, v74, v12 :: v_dual_mul_f32 v72, v131, v51
	v_dual_fmac_f32 v44, v172, v103 :: v_dual_mul_f32 v99, v125, v21
	s_delay_alu instid0(VALU_DEP_3)
	v_fma_f32 v93, v74, v13, -v10
	scratch_load_b128 v[11:14], off, off offset:908 th:TH_LOAD_LU ; 16-byte Folded Reload
	v_mul_f32_e32 v10, v117, v36
	v_dual_fmac_f32 v72, v130, v50 :: v_dual_fmac_f32 v99, v124, v20
	v_fmac_f32_e32 v86, v122, v90
	v_fmac_f32_e32 v54, v166, v82
	s_delay_alu instid0(VALU_DEP_4)
	v_fma_f32 v85, v116, v37, -v10
	v_mul_f32_e32 v10, v119, v16
	v_sub_f32_e32 v70, v79, v102
	v_add_f32_e32 v71, v61, v86
	v_sub_f32_e32 v61, v61, v86
	v_add_f32_e32 v86, v59, v62
	v_fma_f32 v92, v118, v17, -v10
	v_dual_mul_f32 v10, v123, v40 :: v_dual_sub_f32 v59, v62, v59
	v_mul_f32_e32 v96, v123, v41
	v_mul_f32_e32 v84, v117, v37
	;; [unrolled: 1-line block ×3, first 2 shown]
	s_delay_alu instid0(VALU_DEP_4)
	v_fma_f32 v97, v122, v41, -v10
	v_mul_f32_e32 v10, v125, v20
	v_fmac_f32_e32 v96, v122, v40
	v_fmac_f32_e32 v84, v116, v36
	;; [unrolled: 1-line block ×4, first 2 shown]
	v_fma_f32 v100, v124, v21, -v10
	v_mul_f32_e32 v10, v137, v24
	v_mul_f32_e32 v30, v189, v110
	;; [unrolled: 1-line block ×3, first 2 shown]
	s_wait_dscnt 0x1
	v_mul_f32_e32 v20, v201, v193
	v_mul_f32_e32 v22, v203, v159
	v_fma_f32 v65, v136, v25, -v10
	v_mul_f32_e32 v10, v139, v46
	v_mul_f32_e32 v46, v169, v108
	v_fmac_f32_e32 v30, v188, v109
	v_fmac_f32_e32 v40, v180, v142
	;; [unrolled: 1-line block ×3, first 2 shown]
	v_fma_f32 v68, v138, v47, -v10
	v_mul_f32_e32 v10, v129, v38
	v_fmac_f32_e32 v46, v168, v107
	v_fmac_f32_e32 v22, v202, v158
	s_delay_alu instid0(VALU_DEP_3) | instskip(SKIP_2) | instid1(VALU_DEP_2)
	v_fma_f32 v69, v128, v39, -v10
	v_mul_f32_e32 v10, v131, v50
	v_mul_f32_e32 v50, v171, v53
	v_fma_f32 v73, v130, v51, -v10
	s_delay_alu instid0(VALU_DEP_2)
	v_fmac_f32_e32 v50, v170, v52
	s_wait_loadcnt 0x0
	v_mul_f32_e32 v10, v12, v42
	v_mul_f32_e32 v74, v12, v43
	v_mul_f32_e32 v76, v14, v81
	v_mul_f32_e32 v12, v209, v177
	s_delay_alu instid0(VALU_DEP_4)
	v_fma_f32 v75, v11, v43, -v10
	v_mul_f32_e32 v10, v14, v80
	v_fmac_f32_e32 v74, v11, v42
	v_mul_f32_e32 v11, v229, v178
	v_fmac_f32_e32 v76, v13, v80
	v_fma_f32 v80, v230, v67, -v26
	v_fma_f32 v77, v13, v81, -v10
	v_mul_f32_e32 v10, v173, v103
	v_fma_f32 v27, v228, v179, -v11
	v_dual_mul_f32 v11, v231, v67 :: v_dual_mul_f32 v56, v137, v25
	v_sub_f32_e32 v67, v78, v101
	s_delay_alu instid0(VALU_DEP_4) | instskip(NEXT) | instid1(VALU_DEP_3)
	v_fma_f32 v47, v172, v104, -v10
	v_dual_mul_f32 v10, v175, v48 :: v_dual_fmac_f32 v11, v230, v66
	v_dual_mul_f32 v66, v217, v186 :: v_dual_mul_f32 v25, v199, v149
	v_mul_f32_e32 v42, v183, v157
	s_delay_alu instid0(VALU_DEP_3) | instskip(SKIP_1) | instid1(VALU_DEP_4)
	v_fma_f32 v48, v174, v49, -v10
	v_mul_f32_e32 v10, v169, v107
	v_fma_f32 v81, v216, v187, -v66
	v_mul_f32_e32 v66, v219, v88
	v_fmac_f32_e32 v25, v198, v148
	v_fmac_f32_e32 v42, v182, v156
	v_fma_f32 v49, v168, v108, -v10
	v_mul_f32_e32 v10, v171, v52
	v_dual_mul_f32 v52, v165, v141 :: v_dual_mul_f32 v13, v211, v151
	v_fmac_f32_e32 v12, v208, v176
	v_mul_f32_e32 v14, v205, v185
	s_delay_alu instid0(VALU_DEP_4) | instskip(SKIP_2) | instid1(VALU_DEP_4)
	v_fma_f32 v51, v170, v53, -v10
	v_mul_f32_e32 v10, v165, v140
	v_dual_fmac_f32 v52, v164, v140 :: v_dual_fmac_f32 v13, v210, v150
	v_fmac_f32_e32 v14, v204, v184
	v_mul_f32_e32 v26, v217, v187
	s_delay_alu instid0(VALU_DEP_4) | instskip(SKIP_2) | instid1(VALU_DEP_4)
	v_fma_f32 v53, v164, v141, -v10
	v_mul_f32_e32 v10, v167, v82
	v_mul_f32_e32 v82, v219, v89
	v_fmac_f32_e32 v26, v216, v186
	s_delay_alu instid0(VALU_DEP_3)
	v_fma_f32 v55, v166, v83, -v10
	v_mul_f32_e32 v10, v197, v105
	v_fma_f32 v83, v218, v89, -v66
	v_fmac_f32_e32 v56, v136, v24
	v_mul_f32_e32 v24, v197, v106
	v_fmac_f32_e32 v82, v218, v88
	v_fma_f32 v31, v196, v106, -v10
	v_mul_f32_e32 v10, v199, v148
	s_delay_alu instid0(VALU_DEP_4)
	v_fmac_f32_e32 v24, v196, v105
	scratch_load_b128 v[103:106], off, off offset:944 th:TH_LOAD_LU ; 16-byte Folded Reload
	global_wb scope:SCOPE_SE
	s_wait_loadcnt_dscnt 0x0
	v_fma_f32 v36, v198, v149, -v10
	v_mul_f32_e32 v10, v189, v109
	s_barrier_signal -1
	s_barrier_wait -1
	global_inv scope:SCOPE_SE
	v_fma_f32 v37, v188, v110, -v10
	v_mul_f32_e32 v10, v191, v152
	v_mul_f32_e32 v124, v106, v9
	v_mul_f32_e32 v66, v104, v194
	v_mul_f32_e32 v88, v104, v195
	s_delay_alu instid0(VALU_DEP_3) | instskip(SKIP_1) | instid1(VALU_DEP_4)
	v_fmac_f32_e32 v124, v105, v8
	v_mul_f32_e32 v8, v106, v8
	v_fma_f32 v89, v103, v195, -v66
	v_dual_add_f32 v66, v79, v102 :: v_dual_add_f32 v79, v58, v60
	v_sub_f32_e32 v58, v60, v58
	s_delay_alu instid0(VALU_DEP_4) | instskip(SKIP_1) | instid1(VALU_DEP_3)
	v_fma_f32 v8, v105, v9, -v8
	v_dual_add_f32 v9, v78, v101 :: v_dual_add_f32 v78, v63, v87
	v_dual_sub_f32 v63, v63, v87 :: v_dual_sub_f32 v104, v58, v61
	v_fmac_f32_e32 v88, v103, v194
	s_delay_alu instid0(VALU_DEP_3) | instskip(NEXT) | instid1(VALU_DEP_4)
	v_add_f32_e32 v60, v71, v9
	v_add_f32_e32 v62, v78, v66
	v_sub_f32_e32 v101, v78, v66
	v_sub_f32_e32 v102, v86, v78
	v_add_f32_e32 v78, v58, v61
	v_add_f32_e32 v60, v79, v60
	v_dual_sub_f32 v58, v67, v58 :: v_dual_sub_f32 v61, v61, v67
	v_add_f32_e32 v62, v86, v62
	s_delay_alu instid0(VALU_DEP_3)
	v_dual_add_f32 v67, v78, v67 :: v_dual_add_f32 v78, v60, v4
	v_sub_f32_e32 v87, v71, v9
	v_dual_sub_f32 v9, v9, v79 :: v_dual_sub_f32 v66, v66, v86
	v_sub_f32_e32 v71, v79, v71
	v_add_f32_e32 v103, v59, v63
	v_sub_f32_e32 v105, v59, v63
	v_sub_f32_e32 v63, v63, v70
	v_add_f32_e32 v79, v62, v5
	v_mov_b32_e32 v106, v78
	v_dual_sub_f32 v59, v70, v59 :: v_dual_add_f32 v70, v103, v70
	v_dual_mul_f32 v4, 0x3f4a47b2, v9 :: v_dual_mul_f32 v5, 0x3f4a47b2, v66
	v_dual_mul_f32 v9, 0x3d64c772, v71 :: v_dual_mul_f32 v66, 0x3d64c772, v102
	;; [unrolled: 1-line block ×4, first 2 shown]
	v_fmac_f32_e32 v106, 0xbf955555, v60
	v_mov_b32_e32 v60, v79
	v_fma_f32 v9, 0x3f3bfb3b, v87, -v9
	v_fma_f32 v66, 0x3f3bfb3b, v101, -v66
	;; [unrolled: 1-line block ×4, first 2 shown]
	v_fmac_f32_e32 v60, 0xbf955555, v62
	v_dual_fmamk_f32 v62, v71, 0x3d64c772, v4 :: v_dual_fmamk_f32 v71, v102, 0x3d64c772, v5
	v_fma_f32 v4, 0xbf3bfb3b, v87, -v4
	v_fma_f32 v5, 0xbf3bfb3b, v101, -v5
	v_dual_fmac_f32 v104, 0x3eae86e6, v58 :: v_dual_fmac_f32 v105, 0x3eae86e6, v59
	v_dual_fmamk_f32 v101, v58, 0xbeae86e6, v86 :: v_dual_fmamk_f32 v102, v59, 0xbeae86e6, v103
	v_add_f32_e32 v58, v62, v106
	v_dual_add_f32 v9, v9, v106 :: v_dual_add_f32 v62, v66, v60
	v_dual_add_f32 v4, v4, v106 :: v_dual_add_f32 v5, v5, v60
	v_fmac_f32_e32 v61, 0xbee1c552, v67
	v_dual_fmac_f32 v63, 0xbee1c552, v70 :: v_dual_fmac_f32 v104, 0xbee1c552, v67
	v_fmac_f32_e32 v105, 0xbee1c552, v70
	v_add_f32_e32 v59, v71, v60
	v_dual_fmac_f32 v101, 0xbee1c552, v67 :: v_dual_fmac_f32 v102, 0xbee1c552, v70
	s_delay_alu instid0(VALU_DEP_4) | instskip(NEXT) | instid1(VALU_DEP_4)
	v_sub_f32_e32 v67, v5, v104
	v_add_f32_e32 v66, v105, v4
	v_sub_f32_e32 v70, v9, v63
	v_dual_add_f32 v71, v61, v62 :: v_dual_add_f32 v60, v63, v9
	v_sub_f32_e32 v61, v62, v61
	v_sub_f32_e32 v62, v4, v105
	v_dual_add_f32 v63, v104, v5 :: v_dual_add_f32 v4, v94, v99
	v_add_f32_e32 v5, v95, v100
	v_dual_sub_f32 v9, v94, v99 :: v_dual_sub_f32 v94, v95, v100
	v_add_f32_e32 v95, v91, v96
	v_add_f32_e32 v99, v93, v97
	v_dual_sub_f32 v91, v91, v96 :: v_dual_add_f32 v96, v84, v90
	v_sub_f32_e32 v84, v90, v84
	s_delay_alu instid0(VALU_DEP_4) | instskip(SKIP_3) | instid1(VALU_DEP_4)
	v_dual_add_f32 v90, v95, v4 :: v_dual_sub_f32 v93, v93, v97
	v_add_f32_e32 v97, v85, v92
	v_sub_f32_e32 v85, v92, v85
	v_add_f32_e32 v92, v99, v5
	v_add_f32_e32 v90, v96, v90
	v_sub_f32_e32 v104, v84, v91
	v_add_f32_e32 v86, v102, v58
	v_sub_f32_e32 v58, v58, v102
	v_add_f32_e32 v92, v97, v92
	v_add_f32_e32 v122, v90, v6
	v_sub_f32_e32 v100, v95, v4
	v_sub_f32_e32 v4, v4, v96
	;; [unrolled: 1-line block ×3, first 2 shown]
	v_dual_add_f32 v102, v84, v91 :: v_dual_add_f32 v103, v85, v93
	v_sub_f32_e32 v105, v85, v93
	v_sub_f32_e32 v93, v93, v94
	v_dual_add_f32 v123, v92, v7 :: v_dual_mul_f32 v96, 0x3f08b237, v104
	v_dual_mov_b32 v104, v122 :: v_dual_sub_f32 v87, v59, v101
	v_add_f32_e32 v59, v101, v59
	v_sub_f32_e32 v101, v99, v5
	v_sub_f32_e32 v5, v5, v97
	v_sub_f32_e32 v99, v97, v99
	v_dual_sub_f32 v84, v9, v84 :: v_dual_sub_f32 v85, v94, v85
	v_sub_f32_e32 v91, v91, v9
	v_dual_add_f32 v9, v102, v9 :: v_dual_mul_f32 v4, 0x3f4a47b2, v4
	v_mul_f32_e32 v102, 0x3f5ff5aa, v93
	v_fmac_f32_e32 v104, 0xbf955555, v90
	v_mov_b32_e32 v90, v123
	v_dual_add_f32 v94, v103, v94 :: v_dual_mul_f32 v5, 0x3f4a47b2, v5
	v_mul_f32_e32 v6, 0x3d64c772, v95
	v_mul_f32_e32 v7, 0x3d64c772, v99
	;; [unrolled: 1-line block ×4, first 2 shown]
	v_fmac_f32_e32 v90, 0xbf955555, v92
	v_fmamk_f32 v92, v95, 0x3d64c772, v4
	v_fma_f32 v4, 0xbf3bfb3b, v100, -v4
	v_fmac_f32_e32 v102, 0x3eae86e6, v85
	v_dual_mul_f32 v64, v129, v39 :: v_dual_fmamk_f32 v95, v99, 0x3d64c772, v5
	v_fma_f32 v6, 0x3f3bfb3b, v100, -v6
	v_fma_f32 v7, 0x3f3bfb3b, v101, -v7
	;; [unrolled: 1-line block ×3, first 2 shown]
	v_fmamk_f32 v99, v84, 0xbeae86e6, v96
	v_fma_f32 v91, 0xbf5ff5aa, v91, -v96
	v_fma_f32 v93, 0xbf5ff5aa, v93, -v97
	v_fmac_f32_e32 v103, 0x3eae86e6, v84
	v_add_f32_e32 v4, v4, v104
	v_fmac_f32_e32 v102, 0xbee1c552, v94
	v_fmac_f32_e32 v64, v128, v38
	v_fmamk_f32 v100, v85, 0xbeae86e6, v97
	v_dual_add_f32 v6, v6, v104 :: v_dual_add_f32 v7, v7, v90
	v_add_f32_e32 v5, v5, v90
	v_fmac_f32_e32 v99, 0xbee1c552, v9
	v_fmac_f32_e32 v91, 0xbee1c552, v9
	;; [unrolled: 1-line block ×3, first 2 shown]
	v_dual_fmac_f32 v103, 0xbee1c552, v9 :: v_dual_add_f32 v120, v102, v4
	v_sub_f32_e32 v102, v4, v102
	v_dual_add_f32 v4, v56, v76 :: v_dual_add_f32 v9, v57, v74
	v_add_f32_e32 v84, v92, v104
	s_delay_alu instid0(VALU_DEP_4)
	v_dual_fmac_f32 v100, 0xbee1c552, v94 :: v_dual_sub_f32 v121, v5, v103
	v_dual_sub_f32 v110, v6, v93 :: v_dual_add_f32 v111, v91, v7
	v_dual_add_f32 v116, v93, v6 :: v_dual_sub_f32 v117, v7, v91
	v_add_f32_e32 v103, v103, v5
	v_dual_add_f32 v5, v65, v77 :: v_dual_sub_f32 v6, v56, v76
	v_dual_sub_f32 v7, v65, v77 :: v_dual_add_f32 v56, v68, v75
	v_sub_f32_e32 v57, v57, v74
	v_sub_f32_e32 v65, v68, v75
	v_add_f32_e32 v68, v64, v72
	v_add_f32_e32 v74, v69, v73
	v_dual_sub_f32 v64, v72, v64 :: v_dual_sub_f32 v69, v73, v69
	v_add_f32_e32 v72, v9, v4
	v_add_f32_e32 v118, v100, v84
	v_sub_f32_e32 v108, v84, v100
	v_add_f32_e32 v73, v56, v5
	v_sub_f32_e32 v75, v9, v4
	v_sub_f32_e32 v4, v4, v68
	;; [unrolled: 1-line block ×3, first 2 shown]
	v_add_f32_e32 v84, v69, v65
	v_dual_add_f32 v68, v68, v72 :: v_dual_add_f32 v85, v95, v90
	v_add_f32_e32 v77, v64, v57
	v_sub_f32_e32 v91, v69, v65
	v_sub_f32_e32 v69, v7, v69
	v_dual_sub_f32 v65, v65, v7 :: v_dual_add_f32 v72, v74, v73
	v_add_f32_e32 v7, v84, v7
	v_dual_add_f32 v84, v68, v0 :: v_dual_sub_f32 v119, v85, v99
	v_add_f32_e32 v109, v99, v85
	v_dual_sub_f32 v76, v56, v5 :: v_dual_sub_f32 v5, v5, v74
	v_sub_f32_e32 v56, v74, v56
	v_sub_f32_e32 v90, v64, v57
	v_dual_sub_f32 v64, v6, v64 :: v_dual_sub_f32 v57, v57, v6
	v_dual_add_f32 v6, v77, v6 :: v_dual_add_f32 v85, v72, v1
	v_mul_f32_e32 v0, 0x3f4a47b2, v4
	v_mul_f32_e32 v74, 0x3f08b237, v91
	;; [unrolled: 1-line block ×3, first 2 shown]
	v_mov_b32_e32 v77, v84
	v_mul_f32_e32 v1, 0x3f4a47b2, v5
	v_dual_mul_f32 v4, 0x3d64c772, v9 :: v_dual_mul_f32 v5, 0x3d64c772, v56
	v_mul_f32_e32 v73, 0x3f08b237, v90
	v_mul_f32_e32 v90, 0x3f5ff5aa, v57
	v_dual_fmac_f32 v77, 0xbf955555, v68 :: v_dual_mov_b32 v68, v85
	v_fmamk_f32 v9, v9, 0x3d64c772, v0
	v_fma_f32 v0, 0xbf3bfb3b, v75, -v0
	v_fmac_f32_e32 v91, 0x3eae86e6, v69
	v_fmamk_f32 v56, v56, 0x3d64c772, v1
	v_fmac_f32_e32 v68, 0xbf955555, v72
	v_fma_f32 v4, 0x3f3bfb3b, v75, -v4
	v_fma_f32 v5, 0x3f3bfb3b, v76, -v5
	;; [unrolled: 1-line block ×3, first 2 shown]
	v_fmamk_f32 v92, v64, 0xbeae86e6, v73
	v_fmamk_f32 v72, v69, 0xbeae86e6, v74
	v_fma_f32 v57, 0xbf5ff5aa, v57, -v73
	v_fma_f32 v65, 0xbf5ff5aa, v65, -v74
	v_fmac_f32_e32 v90, 0x3eae86e6, v64
	v_dual_add_f32 v0, v0, v77 :: v_dual_fmac_f32 v91, 0xbee1c552, v7
	v_dual_add_f32 v9, v9, v77 :: v_dual_add_f32 v56, v56, v68
	v_dual_add_f32 v4, v4, v77 :: v_dual_add_f32 v5, v5, v68
	v_dual_add_f32 v1, v1, v68 :: v_dual_fmac_f32 v92, 0xbee1c552, v6
	v_dual_fmac_f32 v72, 0xbee1c552, v7 :: v_dual_fmac_f32 v57, 0xbee1c552, v6
	v_dual_fmac_f32 v65, 0xbee1c552, v7 :: v_dual_fmac_f32 v90, 0xbee1c552, v6
	v_add_f32_e32 v74, v91, v0
	v_sub_f32_e32 v68, v0, v91
	v_add_f32_e32 v0, v44, v54
	v_add_f32_e32 v6, v45, v52
	v_dual_add_f32 v100, v72, v9 :: v_dual_sub_f32 v75, v1, v90
	v_sub_f32_e32 v76, v4, v65
	v_add_f32_e32 v77, v57, v5
	v_add_f32_e32 v64, v65, v4
	v_sub_f32_e32 v65, v5, v57
	v_dual_add_f32 v69, v90, v1 :: v_dual_sub_f32 v72, v9, v72
	v_dual_add_f32 v1, v47, v55 :: v_dual_sub_f32 v4, v44, v54
	v_sub_f32_e32 v5, v47, v55
	v_add_f32_e32 v7, v48, v53
	v_dual_sub_f32 v9, v45, v52 :: v_dual_sub_f32 v44, v48, v53
	v_add_f32_e32 v45, v46, v50
	v_dual_add_f32 v47, v49, v51 :: v_dual_sub_f32 v48, v51, v49
	v_add_f32_e32 v49, v6, v0
	v_sub_f32_e32 v46, v50, v46
	v_dual_add_f32 v50, v7, v1 :: v_dual_sub_f32 v51, v6, v0
	v_sub_f32_e32 v0, v0, v45
	v_sub_f32_e32 v6, v45, v6
	v_dual_add_f32 v54, v48, v44 :: v_dual_add_f32 v45, v45, v49
	v_dual_sub_f32 v52, v7, v1 :: v_dual_sub_f32 v1, v1, v47
	v_sub_f32_e32 v7, v47, v7
	v_add_f32_e32 v53, v46, v9
	v_sub_f32_e32 v57, v48, v44
	v_sub_f32_e32 v48, v5, v48
	v_dual_sub_f32 v44, v44, v5 :: v_dual_add_f32 v47, v47, v50
	v_dual_add_f32 v5, v54, v5 :: v_dual_add_f32 v54, v45, v2
	v_sub_f32_e32 v101, v56, v92
	v_dual_add_f32 v73, v92, v56 :: v_dual_sub_f32 v56, v46, v9
	v_dual_sub_f32 v46, v4, v46 :: v_dual_sub_f32 v9, v9, v4
	v_dual_add_f32 v4, v53, v4 :: v_dual_add_f32 v55, v47, v3
	v_mul_f32_e32 v0, 0x3f4a47b2, v0
	v_mul_f32_e32 v91, 0x3f5ff5aa, v44
	v_mov_b32_e32 v53, v54
	v_fma_f32 v39, v190, v153, -v10
	v_dual_mul_f32 v10, v181, v142 :: v_dual_mul_f32 v1, 0x3f4a47b2, v1
	v_dual_mul_f32 v2, 0x3d64c772, v6 :: v_dual_mul_f32 v3, 0x3d64c772, v7
	;; [unrolled: 1-line block ×3, first 2 shown]
	v_mul_f32_e32 v90, 0x3f5ff5aa, v9
	v_fmac_f32_e32 v53, 0xbf955555, v45
	v_dual_mov_b32 v45, v55 :: v_dual_fmamk_f32 v6, v6, 0x3d64c772, v0
	v_fma_f32 v0, 0xbf3bfb3b, v51, -v0
	v_dual_fmac_f32 v91, 0x3eae86e6, v48 :: v_dual_mul_f32 v38, v191, v153
	v_fma_f32 v41, v180, v143, -v10
	s_delay_alu instid0(VALU_DEP_4)
	v_dual_mul_f32 v10, v183, v156 :: v_dual_fmac_f32 v45, 0xbf955555, v47
	v_fmamk_f32 v7, v7, 0x3d64c772, v1
	v_fma_f32 v3, 0x3f3bfb3b, v52, -v3
	v_fma_f32 v1, 0xbf3bfb3b, v52, -v1
	v_dual_fmamk_f32 v92, v46, 0xbeae86e6, v49 :: v_dual_fmamk_f32 v93, v48, 0xbeae86e6, v50
	v_fma_f32 v9, 0xbf5ff5aa, v9, -v49
	v_fmac_f32_e32 v90, 0x3eae86e6, v46
	v_add_f32_e32 v0, v0, v53
	v_dual_fmac_f32 v91, 0xbee1c552, v5 :: v_dual_fmac_f32 v38, v190, v152
	v_fma_f32 v43, v182, v157, -v10
	v_fma_f32 v2, 0x3f3bfb3b, v51, -v2
	;; [unrolled: 1-line block ×3, first 2 shown]
	v_add_f32_e32 v6, v6, v53
	v_add_f32_e32 v7, v7, v45
	;; [unrolled: 1-line block ×3, first 2 shown]
	v_dual_add_f32 v1, v1, v45 :: v_dual_fmac_f32 v92, 0xbee1c552, v4
	v_fmac_f32_e32 v93, 0xbee1c552, v5
	v_fmac_f32_e32 v9, 0xbee1c552, v4
	;; [unrolled: 1-line block ×3, first 2 shown]
	v_add_f32_e32 v50, v91, v0
	v_sub_f32_e32 v46, v0, v91
	v_add_f32_e32 v0, v24, v42
	v_add_f32_e32 v4, v25, v40
	;; [unrolled: 1-line block ×3, first 2 shown]
	v_fmac_f32_e32 v44, 0xbee1c552, v5
	v_dual_add_f32 v56, v93, v6 :: v_dual_sub_f32 v57, v7, v92
	v_sub_f32_e32 v51, v1, v90
	v_add_f32_e32 v53, v9, v3
	v_sub_f32_e32 v45, v3, v9
	v_add_f32_e32 v47, v90, v1
	v_dual_sub_f32 v48, v6, v93 :: v_dual_add_f32 v49, v92, v7
	v_add_f32_e32 v1, v31, v43
	v_sub_f32_e32 v3, v31, v43
	v_dual_add_f32 v5, v36, v41 :: v_dual_sub_f32 v6, v25, v40
	v_sub_f32_e32 v7, v36, v41
	v_add_f32_e32 v9, v30, v38
	v_dual_sub_f32 v25, v38, v30 :: v_dual_sub_f32 v30, v39, v37
	v_add_f32_e32 v31, v4, v0
	v_mul_f32_e32 v10, v209, v176
	v_sub_f32_e32 v52, v2, v44
	v_add_f32_e32 v44, v44, v2
	v_sub_f32_e32 v2, v24, v42
	v_add_f32_e32 v24, v37, v39
	v_dual_add_f32 v36, v5, v1 :: v_dual_sub_f32 v37, v4, v0
	v_sub_f32_e32 v0, v0, v9
	v_sub_f32_e32 v4, v9, v4
	v_add_f32_e32 v40, v30, v7
	v_add_f32_e32 v9, v9, v31
	v_fma_f32 v15, v208, v177, -v10
	v_mul_f32_e32 v10, v211, v150
	v_sub_f32_e32 v38, v5, v1
	v_sub_f32_e32 v1, v1, v24
	v_sub_f32_e32 v5, v24, v5
	v_add_f32_e32 v39, v25, v6
	v_dual_sub_f32 v43, v30, v7 :: v_dual_sub_f32 v30, v3, v30
	v_dual_sub_f32 v7, v7, v3 :: v_dual_add_f32 v24, v24, v36
	v_dual_add_f32 v3, v40, v3 :: v_dual_add_f32 v40, v9, v32
	v_fma_f32 v16, v210, v151, -v10
	v_mul_f32_e32 v10, v205, v184
	v_dual_sub_f32 v42, v25, v6 :: v_dual_sub_f32 v25, v2, v25
	v_sub_f32_e32 v6, v6, v2
	v_dual_add_f32 v2, v39, v2 :: v_dual_add_f32 v41, v24, v33
	v_mov_b32_e32 v39, v40
	v_fma_f32 v17, v204, v185, -v10
	v_mul_f32_e32 v10, v207, v154
	v_mul_f32_e32 v0, 0x3f4a47b2, v0
	v_dual_mul_f32 v31, 0x3d64c772, v4 :: v_dual_mul_f32 v32, 0x3d64c772, v5
	v_mul_f32_e32 v36, 0x3f08b237, v43
	v_mul_f32_e32 v91, 0x3f5ff5aa, v7
	v_fmac_f32_e32 v39, 0xbf955555, v9
	v_mov_b32_e32 v9, v41
	v_fma_f32 v19, v206, v155, -v10
	v_dual_mul_f32 v10, v201, v192 :: v_dual_mul_f32 v1, 0x3f4a47b2, v1
	v_mul_f32_e32 v33, 0x3f08b237, v42
	v_mul_f32_e32 v90, 0x3f5ff5aa, v6
	v_fmac_f32_e32 v9, 0xbf955555, v24
	v_fmamk_f32 v4, v4, 0x3d64c772, v0
	v_fma_f32 v24, 0x3f3bfb3b, v37, -v31
	v_fma_f32 v31, 0x3f3bfb3b, v38, -v32
	;; [unrolled: 1-line block ×3, first 2 shown]
	v_fmamk_f32 v32, v30, 0xbeae86e6, v36
	v_fmac_f32_e32 v91, 0x3eae86e6, v30
	v_fma_f32 v21, v200, v193, -v10
	v_dual_mul_f32 v10, v203, v158 :: v_dual_fmamk_f32 v5, v5, 0x3d64c772, v1
	v_fma_f32 v1, 0xbf3bfb3b, v38, -v1
	v_fmamk_f32 v92, v25, 0xbeae86e6, v33
	v_fmac_f32_e32 v90, 0x3eae86e6, v25
	v_add_f32_e32 v4, v4, v39
	v_add_f32_e32 v0, v0, v39
	v_fmac_f32_e32 v32, 0xbee1c552, v3
	v_fmac_f32_e32 v91, 0xbee1c552, v3
	v_fma_f32 v23, v202, v159, -v10
	v_fma_f32 v6, 0xbf5ff5aa, v6, -v33
	;; [unrolled: 1-line block ×3, first 2 shown]
	v_add_f32_e32 v5, v5, v9
	v_dual_add_f32 v1, v1, v9 :: v_dual_fmac_f32 v92, 0xbee1c552, v2
	v_fmac_f32_e32 v90, 0xbee1c552, v2
	v_add_f32_e32 v42, v32, v4
	v_add_f32_e32 v36, v91, v0
	v_sub_f32_e32 v30, v0, v91
	v_sub_f32_e32 v32, v4, v32
	v_add_f32_e32 v0, v12, v22
	v_add_f32_e32 v4, v13, v20
	v_dual_add_f32 v24, v24, v39 :: v_dual_add_f32 v25, v31, v9
	v_dual_fmac_f32 v6, 0xbee1c552, v2 :: v_dual_fmac_f32 v7, 0xbee1c552, v3
	v_sub_f32_e32 v43, v5, v92
	v_sub_f32_e32 v37, v1, v90
	v_add_f32_e32 v31, v90, v1
	v_add_f32_e32 v33, v92, v5
	;; [unrolled: 1-line block ×3, first 2 shown]
	v_sub_f32_e32 v3, v15, v23
	v_add_f32_e32 v5, v16, v21
	v_add_f32_e32 v9, v14, v18
	;; [unrolled: 1-line block ×3, first 2 shown]
	v_dual_sub_f32 v38, v24, v7 :: v_dual_add_f32 v39, v6, v25
	v_dual_add_f32 v24, v7, v24 :: v_dual_sub_f32 v25, v25, v6
	v_sub_f32_e32 v2, v12, v22
	v_dual_sub_f32 v6, v13, v20 :: v_dual_sub_f32 v7, v16, v21
	v_dual_add_f32 v12, v17, v19 :: v_dual_sub_f32 v13, v18, v14
	v_sub_f32_e32 v14, v19, v17
	v_dual_add_f32 v16, v5, v1 :: v_dual_sub_f32 v17, v4, v0
	v_sub_f32_e32 v0, v0, v9
	v_sub_f32_e32 v4, v9, v4
	v_add_f32_e32 v9, v9, v15
	v_sub_f32_e32 v18, v5, v1
	v_sub_f32_e32 v1, v1, v12
	v_dual_sub_f32 v5, v12, v5 :: v_dual_add_f32 v20, v14, v7
	v_dual_sub_f32 v21, v13, v6 :: v_dual_sub_f32 v22, v14, v7
	v_dual_add_f32 v15, v12, v16 :: v_dual_add_f32 v12, v9, v34
	v_add_f32_e32 v19, v13, v6
	v_dual_sub_f32 v23, v2, v13 :: v_dual_sub_f32 v14, v3, v14
	v_sub_f32_e32 v7, v7, v3
	v_add_f32_e32 v3, v20, v3
	v_dual_add_f32 v13, v15, v35 :: v_dual_mul_f32 v20, 0x3f08b237, v21
	v_dual_mul_f32 v21, 0x3f08b237, v22 :: v_dual_mov_b32 v22, v12
	v_sub_f32_e32 v6, v6, v2
	v_add_f32_e32 v2, v19, v2
	v_dual_mul_f32 v0, 0x3f4a47b2, v0 :: v_dual_mul_f32 v1, 0x3f4a47b2, v1
	v_dual_mul_f32 v16, 0x3d64c772, v4 :: v_dual_mul_f32 v19, 0x3d64c772, v5
	v_mul_f32_e32 v91, 0x3f5ff5aa, v7
	v_dual_fmac_f32 v22, 0xbf955555, v9 :: v_dual_mov_b32 v9, v13
	v_mul_f32_e32 v10, v229, v179
	v_mul_f32_e32 v90, 0x3f5ff5aa, v6
	v_dual_fmamk_f32 v4, v4, 0x3d64c772, v0 :: v_dual_fmamk_f32 v5, v5, 0x3d64c772, v1
	s_delay_alu instid0(VALU_DEP_4)
	v_fmac_f32_e32 v9, 0xbf955555, v15
	v_fma_f32 v15, 0x3f3bfb3b, v17, -v16
	v_fma_f32 v16, 0x3f3bfb3b, v18, -v19
	;; [unrolled: 1-line block ×4, first 2 shown]
	v_fmamk_f32 v18, v14, 0xbeae86e6, v21
	v_fmac_f32_e32 v91, 0x3eae86e6, v14
	v_fmac_f32_e32 v10, v228, v178
	v_fmamk_f32 v19, v23, 0xbeae86e6, v20
	v_fma_f32 v6, 0xbf5ff5aa, v6, -v20
	v_fmac_f32_e32 v90, 0x3eae86e6, v23
	v_add_f32_e32 v4, v4, v22
	v_add_f32_e32 v0, v0, v22
	v_fmac_f32_e32 v18, 0xbee1c552, v3
	v_fmac_f32_e32 v91, 0xbee1c552, v3
	v_fma_f32 v7, 0xbf5ff5aa, v7, -v21
	v_dual_add_f32 v5, v5, v9 :: v_dual_add_f32 v14, v15, v22
	v_add_f32_e32 v15, v16, v9
	v_add_f32_e32 v1, v1, v9
	v_fmac_f32_e32 v19, 0xbee1c552, v2
	v_fmac_f32_e32 v6, 0xbee1c552, v2
	v_fmac_f32_e32 v90, 0xbee1c552, v2
	v_add_f32_e32 v34, v18, v4
	v_add_f32_e32 v20, v91, v0
	v_sub_f32_e32 v16, v0, v91
	v_sub_f32_e32 v18, v4, v18
	v_add_f32_e32 v0, v10, v124
	v_dual_add_f32 v4, v11, v88 :: v_dual_fmac_f32 v7, 0xbee1c552, v3
	v_sub_f32_e32 v35, v5, v19
	v_sub_f32_e32 v21, v1, v90
	v_add_f32_e32 v23, v6, v15
	v_sub_f32_e32 v15, v15, v6
	v_add_f32_e32 v17, v90, v1
	v_add_f32_e32 v19, v19, v5
	;; [unrolled: 1-line block ×3, first 2 shown]
	v_sub_f32_e32 v2, v10, v124
	v_sub_f32_e32 v3, v27, v8
	v_dual_add_f32 v5, v80, v89 :: v_dual_sub_f32 v6, v11, v88
	v_add_f32_e32 v8, v26, v82
	v_sub_f32_e32 v10, v82, v26
	v_add_f32_e32 v26, v4, v0
	v_sub_f32_e32 v22, v14, v7
	v_dual_add_f32 v14, v7, v14 :: v_dual_sub_f32 v7, v80, v89
	v_add_f32_e32 v9, v81, v83
	v_sub_f32_e32 v11, v83, v81
	v_dual_add_f32 v27, v5, v1 :: v_dual_sub_f32 v80, v4, v0
	v_sub_f32_e32 v0, v0, v8
	v_sub_f32_e32 v4, v8, v4
	v_add_f32_e32 v82, v10, v6
	v_dual_add_f32 v8, v8, v26 :: v_dual_sub_f32 v81, v5, v1
	v_sub_f32_e32 v1, v1, v9
	v_sub_f32_e32 v5, v9, v5
	v_dual_add_f32 v83, v11, v7 :: v_dual_sub_f32 v88, v10, v6
	v_sub_f32_e32 v10, v2, v10
	v_dual_sub_f32 v6, v6, v2 :: v_dual_add_f32 v9, v9, v27
	v_add_f32_e32 v26, v82, v2
	v_dual_add_f32 v2, v8, v28 :: v_dual_sub_f32 v89, v11, v7
	v_sub_f32_e32 v11, v3, v11
	v_sub_f32_e32 v7, v7, v3
	v_add_f32_e32 v27, v83, v3
	s_delay_alu instid0(VALU_DEP_4) | instskip(SKIP_3) | instid1(VALU_DEP_4)
	v_dual_add_f32 v3, v9, v29 :: v_dual_mov_b32 v90, v2
	v_mul_f32_e32 v1, 0x3f4a47b2, v1
	v_dual_mul_f32 v28, 0x3d64c772, v4 :: v_dual_mul_f32 v29, 0x3d64c772, v5
	v_mul_f32_e32 v82, 0x3f08b237, v88
	v_fmac_f32_e32 v90, 0xbf955555, v8
	s_delay_alu instid0(VALU_DEP_4)
	v_dual_mov_b32 v8, v3 :: v_dual_fmamk_f32 v5, v5, 0x3d64c772, v1
	ds_store_2addr_b64 v98, v[78:79], v[86:87] offset1:49
	ds_store_2addr_b64 v98, v[66:67], v[70:71] offset0:98 offset1:147
	ds_store_2addr_b64 v98, v[60:61], v[62:63] offset0:196 offset1:245
	;; [unrolled: 1-line block ×6, first 2 shown]
	v_mul_f32_e32 v88, 0x3f5ff5aa, v6
	v_fma_f32 v6, 0xbf5ff5aa, v6, -v82
	v_fmac_f32_e32 v8, 0xbf955555, v9
	v_fma_f32 v9, 0x3f3bfb3b, v80, -v28
	v_fma_f32 v28, 0x3f3bfb3b, v81, -v29
	v_fmamk_f32 v29, v10, 0xbeae86e6, v82
	v_mul_f32_e32 v0, 0x3f4a47b2, v0
	v_dual_add_f32 v82, v5, v8 :: v_dual_mul_f32 v83, 0x3f08b237, v89
	s_delay_alu instid0(VALU_DEP_4)
	v_add_f32_e32 v5, v28, v8
	scratch_load_b32 v28, off, off offset:436 th:TH_LOAD_LU ; 4-byte Folded Reload
	v_mul_f32_e32 v89, 0x3f5ff5aa, v7
	v_fmamk_f32 v4, v4, 0x3d64c772, v0
	v_fma_f32 v0, 0xbf3bfb3b, v80, -v0
	v_fmamk_f32 v80, v11, 0xbeae86e6, v83
	v_fma_f32 v1, 0xbf3bfb3b, v81, -v1
	v_fma_f32 v7, 0xbf5ff5aa, v7, -v83
	v_dual_fmac_f32 v88, 0x3eae86e6, v10 :: v_dual_fmac_f32 v89, 0x3eae86e6, v11
	v_add_f32_e32 v81, v4, v90
	v_dual_fmac_f32 v29, 0xbee1c552, v26 :: v_dual_fmac_f32 v80, 0xbee1c552, v27
	v_add_f32_e32 v4, v9, v90
	v_dual_add_f32 v0, v0, v90 :: v_dual_add_f32 v1, v1, v8
	v_dual_fmac_f32 v6, 0xbee1c552, v26 :: v_dual_fmac_f32 v7, 0xbee1c552, v27
	v_dual_fmac_f32 v88, 0xbee1c552, v26 :: v_dual_fmac_f32 v89, 0xbee1c552, v27
	v_add_f32_e32 v26, v80, v81
	s_delay_alu instid0(VALU_DEP_3) | instskip(NEXT) | instid1(VALU_DEP_3)
	v_dual_sub_f32 v27, v82, v29 :: v_dual_sub_f32 v10, v4, v7
	v_sub_f32_e32 v9, v1, v88
	s_delay_alu instid0(VALU_DEP_4)
	v_dual_add_f32 v8, v89, v0 :: v_dual_add_f32 v11, v6, v5
	v_dual_add_f32 v4, v7, v4 :: v_dual_sub_f32 v5, v5, v6
	v_sub_f32_e32 v6, v0, v89
	v_dual_add_f32 v7, v88, v1 :: v_dual_sub_f32 v0, v81, v80
	v_add_f32_e32 v1, v29, v82
	v_dual_mov_b32 v111, v126 :: v_dual_mov_b32 v128, v127
	s_wait_loadcnt 0x0
	ds_store_2addr_b64 v28, v[84:85], v[100:101] offset0:174 offset1:223
	scratch_load_b32 v28, off, off offset:492 th:TH_LOAD_LU ; 4-byte Folded Reload
	s_wait_loadcnt 0x0
	ds_store_2addr_b64 v28, v[74:75], v[76:77] offset0:16 offset1:65
	ds_store_2addr_b64 v28, v[64:65], v[68:69] offset0:114 offset1:163
	scratch_load_b32 v28, off, off offset:440 th:TH_LOAD_LU ; 4-byte Folded Reload
	s_wait_loadcnt 0x0
	ds_store_b64 v28, v[72:73] offset:7840
	scratch_load_b32 v28, off, off offset:500 th:TH_LOAD_LU ; 4-byte Folded Reload
	s_wait_loadcnt 0x0
	ds_store_2addr_b64 v28, v[54:55], v[56:57] offset0:5 offset1:54
	ds_store_2addr_b64 v28, v[50:51], v[52:53] offset0:103 offset1:152
	;; [unrolled: 1-line block ×3, first 2 shown]
	scratch_load_b32 v28, off, off offset:432 th:TH_LOAD_LU ; 4-byte Folded Reload
	s_wait_loadcnt 0x0
	ds_store_b64 v28, v[48:49] offset:10584
	scratch_load_b32 v28, off, off offset:496 th:TH_LOAD_LU ; 4-byte Folded Reload
	s_wait_loadcnt 0x0
	ds_store_2addr_b64 v28, v[40:41], v[42:43] offset0:92 offset1:141
	ds_store_2addr_b64 v28, v[36:37], v[38:39] offset0:190 offset1:239
	scratch_load_b32 v28, off, off offset:408 th:TH_LOAD_LU ; 4-byte Folded Reload
	s_wait_loadcnt 0x0
	ds_store_2addr_b64 v28, v[24:25], v[30:31] offset0:32 offset1:81
	scratch_load_b32 v24, off, off offset:404 th:TH_LOAD_LU ; 4-byte Folded Reload
	s_wait_loadcnt 0x0
	ds_store_b64 v24, v[32:33] offset:13328
	scratch_load_b32 v24, off, off offset:412 th:TH_LOAD_LU ; 4-byte Folded Reload
	s_wait_loadcnt 0x0
	ds_store_2addr_b64 v24, v[12:13], v[34:35] offset0:179 offset1:228
	scratch_load_b32 v12, off, off offset:420 th:TH_LOAD_LU ; 4-byte Folded Reload
	s_wait_loadcnt 0x0
	ds_store_2addr_b64 v12, v[20:21], v[22:23] offset0:21 offset1:70
	ds_store_2addr_b64 v12, v[14:15], v[16:17] offset0:119 offset1:168
	scratch_load_b32 v12, off, off offset:416 th:TH_LOAD_LU ; 4-byte Folded Reload
	s_wait_loadcnt 0x0
	ds_store_b64 v12, v[18:19] offset:16072
	scratch_load_b32 v12, off, off offset:428 th:TH_LOAD_LU ; 4-byte Folded Reload
	s_wait_loadcnt 0x0
	ds_store_2addr_b64 v12, v[2:3], v[26:27] offset0:10 offset1:59
	ds_store_2addr_b64 v12, v[8:9], v[10:11] offset0:108 offset1:157
	;; [unrolled: 1-line block ×3, first 2 shown]
	scratch_load_b32 v2, off, off offset:424 th:TH_LOAD_LU ; 4-byte Folded Reload
	s_wait_loadcnt 0x0
	ds_store_b64 v2, v[0:1] offset:18816
	global_wb scope:SCOPE_SE
	s_wait_dscnt 0x0
	s_barrier_signal -1
	s_barrier_wait -1
	global_inv scope:SCOPE_SE
	ds_load_2addr_b64 v[12:15], v98 offset1:49
	ds_load_2addr_b64 v[0:3], v214 offset0:38 offset1:87
	ds_load_2addr_b64 v[24:27], v220 offset0:174 offset1:223
	;; [unrolled: 1-line block ×23, first 2 shown]
	ds_load_b64 v[16:17], v98 offset:18816
	s_clause 0x1
	scratch_load_b128 v[28:31], off, off offset:444 th:TH_LOAD_LU
	scratch_load_b128 v[58:61], off, off offset:504 th:TH_LOAD_LU
	s_wait_dscnt 0x2
	v_mul_f32_e32 v73, v113, v120
	s_delay_alu instid0(VALU_DEP_1) | instskip(SKIP_2) | instid1(VALU_DEP_1)
	v_fma_f32 v73, v112, v121, -v73
	s_wait_loadcnt 0x1
	v_dual_mul_f32 v21, v29, v3 :: v_dual_mul_f32 v18, v31, v25
	v_fmac_f32_e32 v21, v28, v2
	v_mul_f32_e32 v2, v29, v2
	s_delay_alu instid0(VALU_DEP_3) | instskip(NEXT) | instid1(VALU_DEP_2)
	v_fmac_f32_e32 v18, v30, v24
	v_fma_f32 v23, v28, v3, -v2
	v_mul_f32_e32 v2, v31, v24
	s_delay_alu instid0(VALU_DEP_1)
	v_fma_f32 v20, v30, v25, -v2
	scratch_load_b128 v[28:31], off, off offset:460 th:TH_LOAD_LU ; 16-byte Folded Reload
	s_wait_loadcnt 0x0
	v_mul_f32_e32 v2, v29, v93
	v_mul_f32_e32 v3, v29, v92
	;; [unrolled: 1-line block ×4, first 2 shown]
	s_delay_alu instid0(VALU_DEP_4) | instskip(NEXT) | instid1(VALU_DEP_4)
	v_fmac_f32_e32 v2, v28, v92
	v_fma_f32 v3, v28, v93, -v3
	s_delay_alu instid0(VALU_DEP_4) | instskip(NEXT) | instid1(VALU_DEP_4)
	v_fmac_f32_e32 v19, v30, v32
	v_fma_f32 v22, v30, v33, -v22
	scratch_load_b128 v[28:31], off, off offset:476 th:TH_LOAD_LU ; 16-byte Folded Reload
	v_mul_f32_e32 v92, v147, v95
	v_mul_f32_e32 v93, v147, v94
	s_delay_alu instid0(VALU_DEP_2) | instskip(NEXT) | instid1(VALU_DEP_2)
	v_fmac_f32_e32 v92, v146, v94
	v_fma_f32 v93, v146, v95, -v93
	s_wait_loadcnt 0x0
	v_mul_f32_e32 v24, v29, v97
	v_dual_mul_f32 v25, v29, v96 :: v_dual_mul_f32 v74, v31, v37
	s_delay_alu instid0(VALU_DEP_2) | instskip(NEXT) | instid1(VALU_DEP_2)
	v_fmac_f32_e32 v24, v28, v96
	v_fma_f32 v25, v28, v97, -v25
	v_mul_f32_e32 v28, v31, v36
	s_delay_alu instid0(VALU_DEP_4) | instskip(NEXT) | instid1(VALU_DEP_2)
	v_dual_mul_f32 v31, v59, v41 :: v_dual_fmac_f32 v74, v30, v36
	v_fma_f32 v75, v30, v37, -v28
	v_mul_f32_e32 v28, v59, v40
	s_delay_alu instid0(VALU_DEP_3) | instskip(NEXT) | instid1(VALU_DEP_2)
	v_fmac_f32_e32 v31, v58, v40
	v_fma_f32 v33, v58, v41, -v28
	v_mul_f32_e32 v28, v61, v27
	s_delay_alu instid0(VALU_DEP_1) | instskip(SKIP_1) | instid1(VALU_DEP_1)
	v_fmac_f32_e32 v28, v60, v26
	v_mul_f32_e32 v26, v61, v26
	v_fma_f32 v30, v60, v27, -v26
	scratch_load_b128 v[58:61], off, off offset:568 th:TH_LOAD_LU ; 16-byte Folded Reload
	s_wait_loadcnt 0x0
	v_mul_f32_e32 v26, v59, v45
	v_mul_f32_e32 v27, v59, v44
	;; [unrolled: 1-line block ×4, first 2 shown]
	s_delay_alu instid0(VALU_DEP_4) | instskip(NEXT) | instid1(VALU_DEP_4)
	v_fmac_f32_e32 v26, v58, v44
	v_fma_f32 v27, v58, v45, -v27
	s_delay_alu instid0(VALU_DEP_4) | instskip(NEXT) | instid1(VALU_DEP_4)
	v_fmac_f32_e32 v29, v60, v34
	v_fma_f32 v32, v60, v35, -v32
	scratch_load_b128 v[58:61], off, off offset:588 th:TH_LOAD_LU ; 16-byte Folded Reload
	s_wait_loadcnt 0x0
	v_mul_f32_e32 v34, v59, v48
	v_mul_f32_e32 v40, v59, v49
	;; [unrolled: 1-line block ×3, first 2 shown]
	s_delay_alu instid0(VALU_DEP_3) | instskip(SKIP_1) | instid1(VALU_DEP_4)
	v_fma_f32 v41, v58, v49, -v34
	v_mul_f32_e32 v34, v61, v38
	v_fmac_f32_e32 v40, v58, v48
	s_delay_alu instid0(VALU_DEP_4) | instskip(NEXT) | instid1(VALU_DEP_3)
	v_fmac_f32_e32 v52, v60, v38
	v_fma_f32 v53, v60, v39, -v34
	scratch_load_b128 v[58:61], off, off offset:604 th:TH_LOAD_LU ; 16-byte Folded Reload
	s_wait_loadcnt 0x0
	v_mul_f32_e32 v34, v59, v42
	v_mul_f32_e32 v36, v59, v43
	;; [unrolled: 1-line block ×3, first 2 shown]
	s_delay_alu instid0(VALU_DEP_3) | instskip(SKIP_1) | instid1(VALU_DEP_4)
	v_fma_f32 v43, v58, v43, -v34
	v_mul_f32_e32 v34, v61, v54
	v_fmac_f32_e32 v36, v58, v42
	s_delay_alu instid0(VALU_DEP_4) | instskip(NEXT) | instid1(VALU_DEP_3)
	v_fmac_f32_e32 v37, v60, v54
	v_fma_f32 v44, v60, v55, -v34
	scratch_load_b128 v[58:61], off, off offset:620 th:TH_LOAD_LU ; 16-byte Folded Reload
	s_wait_loadcnt 0x0
	v_mul_f32_e32 v42, v59, v47
	v_mul_f32_e32 v34, v59, v46
	s_delay_alu instid0(VALU_DEP_2) | instskip(NEXT) | instid1(VALU_DEP_2)
	v_fmac_f32_e32 v42, v58, v46
	v_fma_f32 v45, v58, v47, -v34
	v_mul_f32_e32 v46, v61, v64
	v_mul_f32_e32 v34, v61, v63
	s_delay_alu instid0(VALU_DEP_2) | instskip(NEXT) | instid1(VALU_DEP_2)
	v_fmac_f32_e32 v46, v60, v63
	v_fma_f32 v47, v60, v64, -v34
	scratch_load_b128 v[58:61], off, off offset:636 th:TH_LOAD_LU ; 16-byte Folded Reload
	s_wait_loadcnt 0x0
	v_mul_f32_e32 v48, v59, v51
	v_mul_f32_e32 v34, v59, v50
	s_delay_alu instid0(VALU_DEP_2) | instskip(NEXT) | instid1(VALU_DEP_2)
	v_fmac_f32_e32 v48, v58, v50
	v_fma_f32 v49, v58, v51, -v34
	v_mul_f32_e32 v50, v61, v68
	v_mul_f32_e32 v34, v61, v67
	s_delay_alu instid0(VALU_DEP_2) | instskip(NEXT) | instid1(VALU_DEP_2)
	v_fmac_f32_e32 v50, v60, v67
	v_fma_f32 v51, v60, v68, -v34
	scratch_load_b128 v[60:63], off, off offset:676 th:TH_LOAD_LU ; 16-byte Folded Reload
	s_wait_loadcnt 0x0
	v_mul_f32_e32 v35, v61, v76
	v_mul_f32_e32 v34, v61, v77
	;; [unrolled: 1-line block ×3, first 2 shown]
	s_delay_alu instid0(VALU_DEP_3) | instskip(NEXT) | instid1(VALU_DEP_3)
	v_fma_f32 v61, v60, v77, -v35
	v_dual_mul_f32 v35, v63, v57 :: v_dual_fmac_f32 v34, v60, v76
	v_mul_f32_e32 v76, v115, v106
	v_mul_f32_e32 v77, v115, v105
	s_delay_alu instid0(VALU_DEP_3)
	v_fmac_f32_e32 v35, v62, v56
	v_fma_f32 v62, v62, v57, -v38
	scratch_load_b128 v[54:57], off, off offset:732 th:TH_LOAD_LU ; 16-byte Folded Reload
	v_fmac_f32_e32 v76, v114, v105
	v_fma_f32 v77, v114, v106, -v77
	s_wait_loadcnt 0x0
	v_mul_f32_e32 v38, v55, v80
	v_mul_f32_e32 v60, v55, v81
	v_mul_f32_e32 v64, v57, v66
	s_delay_alu instid0(VALU_DEP_3) | instskip(SKIP_1) | instid1(VALU_DEP_4)
	v_fma_f32 v63, v54, v81, -v38
	v_mul_f32_e32 v38, v57, v65
	v_fmac_f32_e32 v60, v54, v80
	s_delay_alu instid0(VALU_DEP_4) | instskip(NEXT) | instid1(VALU_DEP_3)
	v_dual_fmac_f32 v64, v56, v65 :: v_dual_mul_f32 v81, v161, v118
	v_fma_f32 v65, v56, v66, -v38
	scratch_load_b128 v[54:57], off, off offset:768 th:TH_LOAD_LU ; 16-byte Folded Reload
	s_wait_loadcnt 0x0
	v_mul_f32_e32 v66, v55, v87
	v_mul_f32_e32 v38, v55, v86
	s_delay_alu instid0(VALU_DEP_2) | instskip(NEXT) | instid1(VALU_DEP_2)
	v_fmac_f32_e32 v66, v54, v86
	v_fma_f32 v67, v54, v87, -v38
	v_mul_f32_e32 v86, v57, v70
	v_mul_f32_e32 v38, v57, v69
	s_delay_alu instid0(VALU_DEP_2) | instskip(NEXT) | instid1(VALU_DEP_2)
	v_fmac_f32_e32 v86, v56, v69
	v_fma_f32 v87, v56, v70, -v38
	s_clause 0x1
	scratch_load_b128 v[54:57], off, off offset:784 th:TH_LOAD_LU
	scratch_load_b128 v[68:71], off, off offset:800 th:TH_LOAD_LU
	s_wait_loadcnt 0x1
	v_mul_f32_e32 v38, v55, v79
	v_mul_f32_e32 v39, v55, v78
	s_wait_loadcnt 0x0
	v_mul_f32_e32 v58, v71, v104
	s_delay_alu instid0(VALU_DEP_3) | instskip(NEXT) | instid1(VALU_DEP_3)
	v_dual_mul_f32 v59, v71, v103 :: v_dual_fmac_f32 v38, v54, v78
	v_fma_f32 v55, v54, v79, -v39
	v_mul_f32_e32 v39, v57, v100
	v_mul_f32_e32 v54, v57, v99
	v_dual_mul_f32 v57, v69, v82 :: v_dual_fmac_f32 v58, v70, v103
	v_fma_f32 v59, v70, v104, -v59
	s_delay_alu instid0(VALU_DEP_4) | instskip(NEXT) | instid1(VALU_DEP_4)
	v_fmac_f32_e32 v39, v56, v99
	v_fma_f32 v56, v56, v100, -v54
	v_mul_f32_e32 v54, v69, v83
	scratch_load_b128 v[69:72], off, off offset:816 th:TH_LOAD_LU ; 16-byte Folded Reload
	v_fma_f32 v57, v68, v83, -v57
	v_fmac_f32_e32 v54, v68, v82
	s_wait_loadcnt 0x0
	v_mul_f32_e32 v82, v70, v89
	v_mul_f32_e32 v68, v70, v88
	;; [unrolled: 1-line block ×4, first 2 shown]
	s_delay_alu instid0(VALU_DEP_4) | instskip(NEXT) | instid1(VALU_DEP_4)
	v_fmac_f32_e32 v82, v69, v88
	v_fma_f32 v83, v69, v89, -v68
	v_dual_mul_f32 v68, v72, v107 :: v_dual_mul_f32 v69, v133, v116
	v_fmac_f32_e32 v84, v71, v107
	v_fma_f32 v72, v134, v102, -v70
	v_mul_f32_e32 v70, v113, v121
	s_delay_alu instid0(VALU_DEP_4) | instskip(SKIP_2) | instid1(VALU_DEP_4)
	v_fma_f32 v85, v71, v108, -v68
	v_fma_f32 v71, v132, v117, -v69
	v_dual_mul_f32 v69, v135, v102 :: v_dual_mul_f32 v68, v133, v117
	v_fmac_f32_e32 v70, v112, v120
	v_fma_f32 v89, v160, v119, -v81
	v_mul_f32_e32 v81, v163, v91
	s_delay_alu instid0(VALU_DEP_4) | instskip(SKIP_4) | instid1(VALU_DEP_2)
	v_fmac_f32_e32 v69, v134, v101
	scratch_load_b128 v[99:102], off, off offset:888 th:TH_LOAD_LU ; 16-byte Folded Reload
	v_fmac_f32_e32 v68, v132, v116
	v_mul_f32_e32 v88, v163, v90
	v_fmac_f32_e32 v81, v162, v90
	v_fma_f32 v90, v162, v91, -v88
	v_mul_f32_e32 v88, v145, v123
	v_mul_f32_e32 v91, v145, v122
	s_delay_alu instid0(VALU_DEP_2) | instskip(NEXT) | instid1(VALU_DEP_2)
	v_fmac_f32_e32 v88, v144, v122
	v_fma_f32 v91, v144, v123, -v91
	s_wait_loadcnt_dscnt 0x1
	v_mul_f32_e32 v78, v100, v125
	v_dual_mul_f32 v79, v100, v124 :: v_dual_mul_f32 v96, v102, v110
	v_mul_f32_e32 v80, v102, v109
	s_delay_alu instid0(VALU_DEP_3) | instskip(NEXT) | instid1(VALU_DEP_3)
	v_fmac_f32_e32 v78, v99, v124
	v_fma_f32 v79, v99, v125, -v79
	s_delay_alu instid0(VALU_DEP_4) | instskip(NEXT) | instid1(VALU_DEP_4)
	v_fmac_f32_e32 v96, v101, v109
	v_fma_f32 v97, v101, v110, -v80
	scratch_load_b128 v[99:102], off, off offset:928 th:TH_LOAD_LU ; 16-byte Folded Reload
	v_mul_f32_e32 v80, v161, v119
	s_delay_alu instid0(VALU_DEP_1) | instskip(SKIP_3) | instid1(VALU_DEP_2)
	v_fmac_f32_e32 v80, v160, v118
	s_wait_loadcnt 0x0
	v_mul_f32_e32 v94, v100, v127
	v_mul_f32_e32 v95, v100, v126
	v_fmac_f32_e32 v94, v99, v126
	s_delay_alu instid0(VALU_DEP_2) | instskip(SKIP_2) | instid1(VALU_DEP_1)
	v_fma_f32 v95, v99, v127, -v95
	s_wait_dscnt 0x0
	v_mul_f32_e32 v99, v102, v17
	v_fmac_f32_e32 v99, v101, v16
	v_mul_f32_e32 v16, v102, v16
	s_delay_alu instid0(VALU_DEP_1)
	v_fma_f32 v100, v101, v17, -v16
	v_add_f32_e32 v16, v21, v74
	v_dual_sub_f32 v21, v21, v74 :: v_dual_add_f32 v74, v18, v24
	v_add_f32_e32 v17, v23, v75
	v_sub_f32_e32 v23, v23, v75
	v_dual_add_f32 v75, v20, v25 :: v_dual_sub_f32 v18, v18, v24
	v_add_f32_e32 v24, v2, v19
	v_dual_sub_f32 v2, v19, v2 :: v_dual_add_f32 v19, v74, v16
	v_dual_sub_f32 v20, v20, v25 :: v_dual_add_f32 v25, v3, v22
	s_delay_alu instid0(VALU_DEP_4) | instskip(NEXT) | instid1(VALU_DEP_3)
	v_dual_sub_f32 v3, v22, v3 :: v_dual_add_f32 v22, v75, v17
	v_add_f32_e32 v19, v24, v19
	s_delay_alu instid0(VALU_DEP_4)
	v_add_f32_e32 v103, v2, v18
	v_sub_f32_e32 v105, v2, v18
	v_sub_f32_e32 v107, v21, v2
	v_add_f32_e32 v22, v25, v22
	v_add_f32_e32 v2, v19, v12
	v_dual_sub_f32 v101, v74, v16 :: v_dual_sub_f32 v102, v75, v17
	v_dual_sub_f32 v16, v16, v24 :: v_dual_sub_f32 v17, v17, v25
	;; [unrolled: 1-line block ×3, first 2 shown]
	v_add_f32_e32 v104, v3, v20
	v_sub_f32_e32 v106, v3, v20
	v_sub_f32_e32 v108, v23, v3
	;; [unrolled: 1-line block ×3, first 2 shown]
	v_add_f32_e32 v3, v22, v13
	v_dual_mul_f32 v24, 0x3f08b237, v105 :: v_dual_mov_b32 v105, v2
	v_dual_sub_f32 v20, v20, v23 :: v_dual_add_f32 v21, v103, v21
	v_dual_mul_f32 v12, 0x3f4a47b2, v16 :: v_dual_mul_f32 v13, 0x3f4a47b2, v17
	v_mul_f32_e32 v17, 0x3d64c772, v75
	v_mul_f32_e32 v103, 0x3f5ff5aa, v18
	v_fmac_f32_e32 v105, 0xbf955555, v19
	v_mov_b32_e32 v19, v3
	v_dual_add_f32 v23, v104, v23 :: v_dual_mul_f32 v16, 0x3d64c772, v74
	v_mul_f32_e32 v25, 0x3f08b237, v106
	v_mul_f32_e32 v104, 0x3f5ff5aa, v20
	s_delay_alu instid0(VALU_DEP_4)
	v_fmac_f32_e32 v19, 0xbf955555, v22
	v_fmamk_f32 v22, v74, 0x3d64c772, v12
	v_fmamk_f32 v74, v75, 0x3d64c772, v13
	v_fma_f32 v17, 0x3f3bfb3b, v102, -v17
	v_fma_f32 v13, 0xbf3bfb3b, v102, -v13
	v_fmamk_f32 v75, v107, 0xbeae86e6, v24
	v_fma_f32 v102, 0xbf5ff5aa, v18, -v24
	v_fmac_f32_e32 v103, 0x3eae86e6, v107
	v_fma_f32 v16, 0x3f3bfb3b, v101, -v16
	v_fma_f32 v12, 0xbf3bfb3b, v101, -v12
	v_fmamk_f32 v101, v108, 0xbeae86e6, v25
	v_fma_f32 v18, 0xbf5ff5aa, v20, -v25
	v_fmac_f32_e32 v104, 0x3eae86e6, v108
	v_add_f32_e32 v74, v74, v19
	v_add_f32_e32 v17, v17, v19
	;; [unrolled: 1-line block ×3, first 2 shown]
	v_fmac_f32_e32 v75, 0xbee1c552, v21
	v_fmac_f32_e32 v102, 0xbee1c552, v21
	;; [unrolled: 1-line block ×6, first 2 shown]
	v_sub_f32_e32 v25, v74, v75
	v_sub_f32_e32 v23, v13, v103
	v_add_f32_e32 v21, v102, v17
	v_sub_f32_e32 v19, v17, v102
	v_add_f32_e32 v17, v103, v13
	v_add_f32_e32 v13, v75, v74
	;; [unrolled: 1-line block ×3, first 2 shown]
	v_sub_f32_e32 v31, v31, v52
	v_dual_add_f32 v52, v28, v40 :: v_dual_add_f32 v75, v33, v53
	v_sub_f32_e32 v33, v33, v53
	v_dual_add_f32 v53, v30, v41 :: v_dual_sub_f32 v28, v28, v40
	v_add_f32_e32 v40, v26, v29
	v_sub_f32_e32 v26, v29, v26
	v_dual_add_f32 v29, v52, v74 :: v_dual_add_f32 v106, v22, v105
	v_add_f32_e32 v16, v16, v105
	v_add_f32_e32 v12, v12, v105
	v_dual_sub_f32 v30, v30, v41 :: v_dual_add_f32 v41, v27, v32
	v_sub_f32_e32 v27, v32, v27
	v_dual_add_f32 v32, v53, v75 :: v_dual_add_f32 v29, v40, v29
	v_add_f32_e32 v24, v101, v106
	v_add_f32_e32 v22, v104, v12
	v_sub_f32_e32 v20, v16, v18
	v_add_f32_e32 v18, v18, v16
	v_sub_f32_e32 v16, v12, v104
	v_dual_sub_f32 v12, v106, v101 :: v_dual_sub_f32 v101, v52, v74
	v_sub_f32_e32 v74, v74, v40
	v_sub_f32_e32 v52, v40, v52
	v_add_f32_e32 v32, v41, v32
	v_add_f32_e32 v40, v29, v14
	v_dual_sub_f32 v102, v53, v75 :: v_dual_sub_f32 v75, v75, v41
	v_sub_f32_e32 v53, v41, v53
	v_add_f32_e32 v103, v26, v28
	v_sub_f32_e32 v105, v26, v28
	v_add_f32_e32 v41, v32, v15
	v_dual_mov_b32 v107, v40 :: v_dual_sub_f32 v26, v31, v26
	v_sub_f32_e32 v28, v28, v31
	v_dual_add_f32 v31, v103, v31 :: v_dual_mul_f32 v14, 0x3f4a47b2, v74
	v_mul_f32_e32 v15, 0x3f4a47b2, v75
	v_dual_mul_f32 v74, 0x3d64c772, v52 :: v_dual_mul_f32 v75, 0x3d64c772, v53
	v_mul_f32_e32 v103, 0x3f08b237, v105
	v_fmac_f32_e32 v107, 0xbf955555, v29
	v_dual_mov_b32 v29, v41 :: v_dual_add_f32 v104, v27, v30
	v_sub_f32_e32 v106, v27, v30
	v_dual_sub_f32 v30, v30, v33 :: v_dual_sub_f32 v27, v33, v27
	s_delay_alu instid0(VALU_DEP_3)
	v_fmac_f32_e32 v29, 0xbf955555, v32
	v_fmamk_f32 v32, v52, 0x3d64c772, v14
	v_fmamk_f32 v52, v53, 0x3d64c772, v15
	v_fma_f32 v53, 0x3f3bfb3b, v101, -v74
	v_fma_f32 v74, 0x3f3bfb3b, v102, -v75
	;; [unrolled: 1-line block ×4, first 2 shown]
	v_dual_add_f32 v33, v104, v33 :: v_dual_mul_f32 v104, 0x3f08b237, v106
	v_mul_f32_e32 v106, 0x3f5ff5aa, v30
	v_fma_f32 v14, 0xbf3bfb3b, v101, -v14
	v_fmamk_f32 v75, v26, 0xbeae86e6, v103
	v_add_f32_e32 v74, v74, v29
	v_fmac_f32_e32 v102, 0xbee1c552, v31
	v_mul_f32_e32 v105, 0x3f5ff5aa, v28
	v_fmamk_f32 v101, v27, 0xbeae86e6, v104
	v_fma_f32 v28, 0xbf5ff5aa, v30, -v104
	v_fmac_f32_e32 v106, 0x3eae86e6, v27
	v_add_f32_e32 v32, v32, v107
	v_dual_add_f32 v103, v52, v29 :: v_dual_add_f32 v30, v53, v107
	v_dual_add_f32 v104, v14, v107 :: v_dual_add_f32 v107, v15, v29
	v_fmac_f32_e32 v75, 0xbee1c552, v31
	v_add_f32_e32 v27, v102, v74
	v_sub_f32_e32 v29, v74, v102
	v_add_f32_e32 v74, v36, v50
	v_sub_f32_e32 v36, v36, v50
	v_dual_add_f32 v50, v37, v48 :: v_dual_fmac_f32 v105, 0x3eae86e6, v26
	v_fmac_f32_e32 v101, 0xbee1c552, v33
	v_fmac_f32_e32 v28, 0xbee1c552, v33
	v_dual_fmac_f32 v106, 0xbee1c552, v33 :: v_dual_sub_f32 v53, v103, v75
	v_add_f32_e32 v33, v75, v103
	v_add_f32_e32 v75, v43, v51
	v_sub_f32_e32 v43, v43, v51
	v_add_f32_e32 v51, v44, v49
	v_dual_sub_f32 v37, v37, v48 :: v_dual_add_f32 v48, v42, v46
	v_sub_f32_e32 v42, v46, v42
	v_dual_add_f32 v46, v50, v74 :: v_dual_fmac_f32 v105, 0xbee1c552, v31
	v_dual_sub_f32 v44, v44, v49 :: v_dual_add_f32 v49, v45, v47
	v_sub_f32_e32 v45, v47, v45
	v_add_f32_e32 v47, v51, v75
	s_delay_alu instid0(VALU_DEP_4)
	v_dual_add_f32 v103, v42, v37 :: v_dual_add_f32 v46, v48, v46
	v_add_f32_e32 v52, v101, v32
	v_dual_add_f32 v14, v106, v104 :: v_dual_sub_f32 v15, v107, v105
	v_sub_f32_e32 v26, v30, v28
	v_add_f32_e32 v28, v28, v30
	v_dual_sub_f32 v30, v104, v106 :: v_dual_add_f32 v31, v105, v107
	v_dual_sub_f32 v32, v32, v101 :: v_dual_sub_f32 v101, v50, v74
	v_sub_f32_e32 v74, v74, v48
	v_dual_sub_f32 v50, v48, v50 :: v_dual_sub_f32 v105, v42, v37
	v_sub_f32_e32 v106, v45, v44
	v_dual_sub_f32 v42, v36, v42 :: v_dual_sub_f32 v107, v37, v36
	v_dual_add_f32 v47, v49, v47 :: v_dual_add_f32 v48, v103, v36
	v_add_f32_e32 v36, v46, v8
	v_sub_f32_e32 v102, v51, v75
	v_dual_sub_f32 v75, v75, v49 :: v_dual_add_f32 v104, v45, v44
	s_delay_alu instid0(VALU_DEP_4) | instskip(NEXT) | instid1(VALU_DEP_4)
	v_dual_sub_f32 v44, v44, v43 :: v_dual_add_f32 v37, v47, v9
	v_dual_mul_f32 v103, 0x3f08b237, v106 :: v_dual_mov_b32 v106, v36
	v_sub_f32_e32 v51, v49, v51
	v_dual_sub_f32 v45, v43, v45 :: v_dual_mul_f32 v8, 0x3f4a47b2, v74
	v_mul_f32_e32 v9, 0x3f4a47b2, v75
	v_mul_f32_e32 v75, 0x3f08b237, v105
	;; [unrolled: 1-line block ×3, first 2 shown]
	v_fmac_f32_e32 v106, 0xbf955555, v46
	v_dual_mov_b32 v46, v37 :: v_dual_add_f32 v43, v104, v43
	v_dual_mul_f32 v49, 0x3d64c772, v50 :: v_dual_mul_f32 v74, 0x3d64c772, v51
	v_mul_f32_e32 v104, 0x3f5ff5aa, v107
	s_delay_alu instid0(VALU_DEP_3)
	v_fmac_f32_e32 v46, 0xbf955555, v47
	v_fmamk_f32 v47, v50, 0x3d64c772, v8
	v_fma_f32 v8, 0xbf3bfb3b, v101, -v8
	v_fmac_f32_e32 v105, 0x3eae86e6, v45
	v_fmamk_f32 v50, v51, 0x3d64c772, v9
	v_fma_f32 v49, 0x3f3bfb3b, v101, -v49
	v_fma_f32 v51, 0x3f3bfb3b, v102, -v74
	v_fma_f32 v9, 0xbf3bfb3b, v102, -v9
	v_fmamk_f32 v101, v42, 0xbeae86e6, v75
	v_fmamk_f32 v102, v45, 0xbeae86e6, v103
	v_fma_f32 v107, 0xbf5ff5aa, v107, -v75
	v_fma_f32 v103, 0xbf5ff5aa, v44, -v103
	v_fmac_f32_e32 v104, 0x3eae86e6, v42
	v_dual_add_f32 v8, v8, v106 :: v_dual_fmac_f32 v105, 0xbee1c552, v43
	v_add_f32_e32 v108, v47, v106
	v_add_f32_e32 v47, v49, v106
	;; [unrolled: 1-line block ×4, first 2 shown]
	v_fmac_f32_e32 v101, 0xbee1c552, v48
	v_fmac_f32_e32 v107, 0xbee1c552, v48
	v_dual_fmac_f32 v103, 0xbee1c552, v43 :: v_dual_fmac_f32 v104, 0xbee1c552, v48
	v_add_f32_e32 v42, v105, v8
	v_sub_f32_e32 v48, v8, v105
	v_add_f32_e32 v8, v34, v86
	v_sub_f32_e32 v34, v34, v86
	v_add_f32_e32 v86, v35, v66
	v_dual_add_f32 v109, v50, v46 :: v_dual_fmac_f32 v102, 0xbee1c552, v43
	v_dual_sub_f32 v43, v9, v104 :: v_dual_sub_f32 v44, v47, v103
	v_add_f32_e32 v45, v107, v49
	v_add_f32_e32 v46, v103, v47
	v_sub_f32_e32 v47, v49, v107
	v_add_f32_e32 v49, v104, v9
	v_add_f32_e32 v9, v61, v87
	v_sub_f32_e32 v61, v61, v87
	v_add_f32_e32 v87, v62, v67
	v_dual_sub_f32 v35, v35, v66 :: v_dual_add_f32 v66, v60, v64
	v_sub_f32_e32 v60, v64, v60
	v_add_f32_e32 v64, v86, v8
	v_dual_sub_f32 v62, v62, v67 :: v_dual_add_f32 v67, v63, v65
	v_sub_f32_e32 v63, v65, v63
	s_delay_alu instid0(VALU_DEP_3) | instskip(SKIP_1) | instid1(VALU_DEP_3)
	v_dual_add_f32 v65, v87, v9 :: v_dual_add_f32 v64, v66, v64
	v_add_f32_e32 v103, v60, v35
	v_dual_sub_f32 v105, v60, v35 :: v_dual_add_f32 v104, v63, v62
	v_dual_sub_f32 v106, v63, v62 :: v_dual_sub_f32 v107, v34, v60
	s_delay_alu instid0(VALU_DEP_4)
	v_dual_add_f32 v65, v67, v65 :: v_dual_add_f32 v60, v64, v10
	v_dual_add_f32 v74, v102, v108 :: v_dual_sub_f32 v75, v109, v101
	v_dual_sub_f32 v50, v108, v102 :: v_dual_add_f32 v51, v101, v109
	v_dual_sub_f32 v101, v86, v8 :: v_dual_sub_f32 v102, v87, v9
	v_dual_sub_f32 v8, v8, v66 :: v_dual_sub_f32 v9, v9, v67
	v_dual_sub_f32 v86, v66, v86 :: v_dual_sub_f32 v87, v67, v87
	v_sub_f32_e32 v63, v61, v63
	v_dual_sub_f32 v35, v35, v34 :: v_dual_sub_f32 v62, v62, v61
	v_add_f32_e32 v34, v103, v34
	v_dual_add_f32 v66, v104, v61 :: v_dual_add_f32 v61, v65, v11
	v_dual_mul_f32 v103, 0x3f08b237, v106 :: v_dual_mov_b32 v106, v60
	v_dual_mul_f32 v8, 0x3f4a47b2, v8 :: v_dual_mul_f32 v9, 0x3f4a47b2, v9
	v_mul_f32_e32 v11, 0x3d64c772, v87
	v_mul_f32_e32 v67, 0x3f08b237, v105
	s_delay_alu instid0(VALU_DEP_4)
	v_fmac_f32_e32 v106, 0xbf955555, v64
	v_mov_b32_e32 v64, v61
	v_mul_f32_e32 v10, 0x3d64c772, v86
	v_mul_f32_e32 v104, 0x3f5ff5aa, v35
	v_fma_f32 v11, 0x3f3bfb3b, v102, -v11
	v_fma_f32 v35, 0xbf5ff5aa, v35, -v67
	v_fmac_f32_e32 v64, 0xbf955555, v65
	v_dual_fmamk_f32 v65, v86, 0x3d64c772, v8 :: v_dual_fmamk_f32 v86, v87, 0x3d64c772, v9
	v_fmamk_f32 v87, v107, 0xbeae86e6, v67
	v_mul_f32_e32 v105, 0x3f5ff5aa, v62
	v_fma_f32 v9, 0xbf3bfb3b, v102, -v9
	v_add_f32_e32 v11, v11, v64
	s_delay_alu instid0(VALU_DEP_4)
	v_dual_add_f32 v86, v86, v64 :: v_dual_fmac_f32 v87, 0xbee1c552, v34
	v_fmac_f32_e32 v35, 0xbee1c552, v34
	v_fma_f32 v10, 0x3f3bfb3b, v101, -v10
	v_fma_f32 v8, 0xbf3bfb3b, v101, -v8
	v_fmamk_f32 v101, v63, 0xbeae86e6, v103
	v_fmac_f32_e32 v104, 0x3eae86e6, v107
	v_fmac_f32_e32 v105, 0x3eae86e6, v63
	v_add_f32_e32 v107, v9, v64
	v_sub_f32_e32 v63, v86, v87
	v_add_f32_e32 v67, v35, v11
	v_sub_f32_e32 v9, v11, v35
	v_dual_add_f32 v35, v87, v86 :: v_dual_add_f32 v86, v38, v84
	v_sub_f32_e32 v38, v38, v84
	v_add_f32_e32 v84, v39, v82
	v_fma_f32 v102, 0xbf5ff5aa, v62, -v103
	v_add_f32_e32 v103, v65, v106
	v_fmac_f32_e32 v101, 0xbee1c552, v66
	v_add_f32_e32 v87, v55, v85
	v_sub_f32_e32 v55, v55, v85
	v_add_f32_e32 v85, v56, v83
	v_sub_f32_e32 v39, v39, v82
	;; [unrolled: 2-line block ×3, first 2 shown]
	v_add_f32_e32 v58, v84, v86
	v_add_f32_e32 v10, v10, v106
	;; [unrolled: 1-line block ×3, first 2 shown]
	v_fmac_f32_e32 v102, 0xbee1c552, v66
	v_fmac_f32_e32 v104, 0xbee1c552, v34
	v_dual_fmac_f32 v105, 0xbee1c552, v66 :: v_dual_add_f32 v62, v101, v103
	v_sub_f32_e32 v34, v103, v101
	v_sub_f32_e32 v56, v56, v83
	v_add_f32_e32 v83, v57, v59
	v_sub_f32_e32 v57, v59, v57
	v_add_f32_e32 v59, v85, v87
	v_add_f32_e32 v103, v54, v39
	v_add_f32_e32 v58, v82, v58
	v_dual_add_f32 v64, v105, v106 :: v_dual_sub_f32 v65, v107, v104
	v_sub_f32_e32 v66, v10, v102
	v_add_f32_e32 v8, v102, v10
	v_dual_sub_f32 v10, v106, v105 :: v_dual_add_f32 v11, v104, v107
	v_sub_f32_e32 v101, v84, v86
	v_sub_f32_e32 v86, v86, v82
	;; [unrolled: 1-line block ×3, first 2 shown]
	v_dual_sub_f32 v105, v54, v39 :: v_dual_sub_f32 v106, v57, v56
	v_sub_f32_e32 v54, v38, v54
	v_sub_f32_e32 v107, v39, v38
	v_add_f32_e32 v59, v83, v59
	v_add_f32_e32 v82, v103, v38
	;; [unrolled: 1-line block ×3, first 2 shown]
	v_sub_f32_e32 v102, v85, v87
	v_dual_sub_f32 v87, v87, v83 :: v_dual_add_f32 v104, v57, v56
	v_dual_sub_f32 v56, v56, v55 :: v_dual_add_f32 v39, v59, v5
	s_delay_alu instid0(VALU_DEP_4)
	v_dual_mul_f32 v103, 0x3f08b237, v106 :: v_dual_mov_b32 v106, v38
	v_sub_f32_e32 v85, v83, v85
	v_dual_sub_f32 v57, v55, v57 :: v_dual_mul_f32 v4, 0x3f4a47b2, v86
	v_mul_f32_e32 v5, 0x3f4a47b2, v87
	v_mul_f32_e32 v83, 0x3d64c772, v84
	;; [unrolled: 1-line block ×4, first 2 shown]
	v_fmac_f32_e32 v106, 0xbf955555, v58
	v_dual_mov_b32 v58, v39 :: v_dual_add_f32 v55, v104, v55
	v_mul_f32_e32 v86, 0x3d64c772, v85
	v_mul_f32_e32 v104, 0x3f5ff5aa, v107
	v_fma_f32 v83, 0x3f3bfb3b, v101, -v83
	s_delay_alu instid0(VALU_DEP_4)
	v_fmac_f32_e32 v58, 0xbf955555, v59
	v_fmamk_f32 v59, v84, 0x3d64c772, v4
	v_fma_f32 v4, 0xbf3bfb3b, v101, -v4
	v_fma_f32 v56, 0xbf5ff5aa, v56, -v103
	v_fmac_f32_e32 v105, 0x3eae86e6, v57
	v_fmamk_f32 v84, v85, 0x3d64c772, v5
	v_fma_f32 v85, 0x3f3bfb3b, v102, -v86
	v_fma_f32 v5, 0xbf3bfb3b, v102, -v5
	v_fmamk_f32 v101, v54, 0xbeae86e6, v87
	v_fma_f32 v107, 0xbf5ff5aa, v107, -v87
	v_fmac_f32_e32 v104, 0x3eae86e6, v54
	v_add_f32_e32 v54, v83, v106
	v_add_f32_e32 v4, v4, v106
	v_fmac_f32_e32 v56, 0xbee1c552, v55
	v_fmac_f32_e32 v105, 0xbee1c552, v55
	v_dual_fmamk_f32 v102, v57, 0xbeae86e6, v103 :: v_dual_add_f32 v103, v84, v58
	v_add_f32_e32 v57, v85, v58
	v_add_f32_e32 v5, v5, v58
	v_fmac_f32_e32 v107, 0xbee1c552, v82
	v_fmac_f32_e32 v104, 0xbee1c552, v82
	v_add_f32_e32 v84, v105, v4
	v_sub_f32_e32 v86, v54, v56
	v_add_f32_e32 v54, v56, v54
	v_sub_f32_e32 v56, v4, v105
	;; [unrolled: 2-line block ×3, first 2 shown]
	v_add_f32_e32 v96, v69, v78
	v_dual_fmac_f32 v102, 0xbee1c552, v55 :: v_dual_sub_f32 v85, v5, v104
	v_add_f32_e32 v87, v107, v57
	v_sub_f32_e32 v55, v57, v107
	v_add_f32_e32 v57, v104, v5
	v_add_f32_e32 v5, v71, v97
	v_sub_f32_e32 v71, v71, v97
	v_add_f32_e32 v97, v72, v79
	v_dual_sub_f32 v69, v69, v78 :: v_dual_add_f32 v78, v70, v76
	v_sub_f32_e32 v70, v76, v70
	v_add_f32_e32 v76, v96, v4
	v_dual_sub_f32 v72, v72, v79 :: v_dual_add_f32 v79, v73, v77
	v_sub_f32_e32 v73, v77, v73
	s_delay_alu instid0(VALU_DEP_3) | instskip(SKIP_3) | instid1(VALU_DEP_4)
	v_dual_add_f32 v77, v97, v5 :: v_dual_add_f32 v76, v78, v76
	v_add_f32_e32 v59, v59, v106
	v_fmac_f32_e32 v101, 0xbee1c552, v82
	v_sub_f32_e32 v105, v70, v69
	v_dual_add_f32 v77, v79, v77 :: v_dual_add_f32 v6, v76, v6
	s_delay_alu instid0(VALU_DEP_3)
	v_dual_add_f32 v82, v102, v59 :: v_dual_sub_f32 v83, v103, v101
	v_dual_sub_f32 v58, v59, v102 :: v_dual_add_f32 v59, v101, v103
	v_dual_sub_f32 v101, v96, v4 :: v_dual_sub_f32 v102, v97, v5
	v_dual_sub_f32 v4, v4, v78 :: v_dual_sub_f32 v5, v5, v79
	v_add_f32_e32 v103, v70, v69
	v_sub_f32_e32 v69, v69, v68
	v_add_f32_e32 v7, v77, v7
	v_mov_b32_e32 v107, v6
	v_dual_sub_f32 v96, v78, v96 :: v_dual_sub_f32 v97, v79, v97
	v_add_f32_e32 v104, v73, v72
	v_sub_f32_e32 v106, v73, v72
	v_sub_f32_e32 v70, v68, v70
	;; [unrolled: 1-line block ×3, first 2 shown]
	v_add_f32_e32 v68, v103, v68
	v_dual_mul_f32 v4, 0x3f4a47b2, v4 :: v_dual_mul_f32 v5, 0x3f4a47b2, v5
	v_mul_f32_e32 v103, 0x3f08b237, v105
	v_mul_f32_e32 v105, 0x3f5ff5aa, v69
	v_dual_fmac_f32 v107, 0xbf955555, v76 :: v_dual_mov_b32 v76, v7
	v_sub_f32_e32 v73, v71, v73
	v_dual_add_f32 v71, v104, v71 :: v_dual_mul_f32 v78, 0x3d64c772, v96
	v_mul_f32_e32 v79, 0x3d64c772, v97
	v_mul_f32_e32 v104, 0x3f08b237, v106
	;; [unrolled: 1-line block ×3, first 2 shown]
	v_fmac_f32_e32 v76, 0xbf955555, v77
	v_dual_fmamk_f32 v77, v96, 0x3d64c772, v4 :: v_dual_fmamk_f32 v96, v97, 0x3d64c772, v5
	v_fma_f32 v5, 0xbf3bfb3b, v102, -v5
	v_fmamk_f32 v97, v70, 0xbeae86e6, v103
	v_fmac_f32_e32 v105, 0x3eae86e6, v70
	v_fma_f32 v78, 0x3f3bfb3b, v101, -v78
	v_fma_f32 v79, 0x3f3bfb3b, v102, -v79
	v_fma_f32 v4, 0xbf3bfb3b, v101, -v4
	v_fmamk_f32 v101, v73, 0xbeae86e6, v104
	v_fma_f32 v102, 0xbf5ff5aa, v69, -v103
	v_fma_f32 v103, 0xbf5ff5aa, v72, -v104
	v_fmac_f32_e32 v106, 0x3eae86e6, v73
	v_add_f32_e32 v96, v96, v76
	v_add_f32_e32 v5, v5, v76
	v_fmac_f32_e32 v97, 0xbee1c552, v68
	v_dual_fmac_f32 v105, 0xbee1c552, v68 :: v_dual_add_f32 v104, v77, v107
	v_dual_add_f32 v77, v78, v107 :: v_dual_add_f32 v78, v79, v76
	v_fmac_f32_e32 v101, 0xbee1c552, v71
	v_fmac_f32_e32 v103, 0xbee1c552, v71
	v_dual_fmac_f32 v106, 0xbee1c552, v71 :: v_dual_sub_f32 v69, v96, v97
	v_sub_f32_e32 v71, v5, v105
	v_add_f32_e32 v79, v105, v5
	v_dual_add_f32 v5, v97, v96 :: v_dual_add_f32 v96, v80, v99
	v_dual_sub_f32 v80, v80, v99 :: v_dual_add_f32 v99, v81, v94
	v_add_f32_e32 v97, v89, v100
	v_dual_sub_f32 v89, v89, v100 :: v_dual_add_f32 v100, v90, v95
	v_dual_sub_f32 v81, v81, v94 :: v_dual_add_f32 v94, v88, v92
	v_sub_f32_e32 v88, v92, v88
	v_add_f32_e32 v92, v99, v96
	v_add_f32_e32 v4, v4, v107
	v_fmac_f32_e32 v102, 0xbee1c552, v68
	v_sub_f32_e32 v72, v77, v103
	v_add_f32_e32 v76, v103, v77
	v_dual_sub_f32 v90, v90, v95 :: v_dual_add_f32 v95, v91, v93
	v_sub_f32_e32 v91, v93, v91
	v_add_f32_e32 v93, v100, v97
	v_dual_add_f32 v103, v88, v81 :: v_dual_add_f32 v92, v94, v92
	v_add_f32_e32 v68, v101, v104
	v_add_f32_e32 v70, v106, v4
	;; [unrolled: 1-line block ×3, first 2 shown]
	v_sub_f32_e32 v77, v78, v102
	v_sub_f32_e32 v78, v4, v106
	v_dual_sub_f32 v4, v104, v101 :: v_dual_sub_f32 v101, v99, v96
	v_dual_sub_f32 v96, v96, v94 :: v_dual_sub_f32 v99, v94, v99
	v_dual_sub_f32 v105, v88, v81 :: v_dual_sub_f32 v106, v91, v90
	v_sub_f32_e32 v88, v80, v88
	v_sub_f32_e32 v107, v81, v80
	v_add_f32_e32 v93, v95, v93
	v_add_f32_e32 v94, v103, v80
	;; [unrolled: 1-line block ×3, first 2 shown]
	v_dual_sub_f32 v102, v100, v97 :: v_dual_sub_f32 v97, v97, v95
	v_sub_f32_e32 v100, v95, v100
	v_add_f32_e32 v104, v91, v90
	v_sub_f32_e32 v90, v90, v89
	v_add_f32_e32 v81, v93, v1
	v_dual_mul_f32 v103, 0x3f08b237, v106 :: v_dual_mov_b32 v106, v80
	v_sub_f32_e32 v91, v89, v91
	v_dual_add_f32 v89, v104, v89 :: v_dual_mul_f32 v0, 0x3f4a47b2, v96
	v_mul_f32_e32 v1, 0x3f4a47b2, v97
	v_dual_mul_f32 v95, 0x3d64c772, v99 :: v_dual_mul_f32 v96, 0x3d64c772, v100
	v_mul_f32_e32 v97, 0x3f08b237, v105
	v_dual_mul_f32 v104, 0x3f5ff5aa, v107 :: v_dual_mul_f32 v105, 0x3f5ff5aa, v90
	v_fmac_f32_e32 v106, 0xbf955555, v92
	v_mov_b32_e32 v92, v81
	v_fma_f32 v95, 0x3f3bfb3b, v101, -v95
	v_fma_f32 v96, 0x3f3bfb3b, v102, -v96
	v_dual_fmac_f32 v104, 0x3eae86e6, v88 :: v_dual_fmac_f32 v105, 0x3eae86e6, v91
	s_delay_alu instid0(VALU_DEP_4)
	v_fmac_f32_e32 v92, 0xbf955555, v93
	v_fmamk_f32 v93, v99, 0x3d64c772, v0
	v_fmamk_f32 v99, v100, 0x3d64c772, v1
	v_fma_f32 v0, 0xbf3bfb3b, v101, -v0
	v_fma_f32 v1, 0xbf3bfb3b, v102, -v1
	v_fmamk_f32 v100, v88, 0xbeae86e6, v97
	v_fmamk_f32 v101, v91, 0xbeae86e6, v103
	v_fma_f32 v97, 0xbf5ff5aa, v107, -v97
	v_fma_f32 v102, 0xbf5ff5aa, v90, -v103
	ds_store_b64 v98, v[24:25] offset:2744
	ds_store_b64 v98, v[22:23] offset:5488
	;; [unrolled: 1-line block ×6, first 2 shown]
	ds_store_2addr_b64 v98, v[2:3], v[40:41] offset1:49
	ds_store_2addr_b64 v214, v[52:53], v[74:75] offset0:136 offset1:185
	v_add_nc_u32_e32 v2, 0x1400, v98
	v_add_f32_e32 v103, v93, v106
	v_add_f32_e32 v99, v99, v92
	v_dual_add_f32 v95, v95, v106 :: v_dual_add_f32 v96, v96, v92
	v_dual_add_f32 v0, v0, v106 :: v_dual_add_f32 v1, v1, v92
	v_dual_fmac_f32 v100, 0xbee1c552, v94 :: v_dual_fmac_f32 v101, 0xbee1c552, v89
	v_dual_fmac_f32 v97, 0xbee1c552, v94 :: v_dual_fmac_f32 v102, 0xbee1c552, v89
	;; [unrolled: 1-line block ×3, first 2 shown]
	ds_store_2addr_b64 v2, v[14:15], v[42:43] offset0:95 offset1:144
	ds_store_2addr_b64 v222, v[26:27], v[44:45] offset0:54 offset1:103
	;; [unrolled: 1-line block ×9, first 2 shown]
	v_add_nc_u32_e32 v2, 0x2c00, v98
	v_dual_add_f32 v88, v101, v103 :: v_dual_sub_f32 v89, v99, v100
	v_add_f32_e32 v90, v105, v0
	v_dual_sub_f32 v91, v1, v104 :: v_dual_sub_f32 v92, v95, v102
	v_dual_add_f32 v93, v97, v96 :: v_dual_add_f32 v94, v102, v95
	v_sub_f32_e32 v95, v96, v97
	v_sub_f32_e32 v96, v0, v105
	v_add_f32_e32 v97, v104, v1
	v_dual_sub_f32 v0, v103, v101 :: v_dual_add_f32 v1, v100, v99
	ds_store_2addr_b64 v2, v[8:9], v[54:55] offset0:111 offset1:160
	ds_store_2addr_b64 v215, v[10:11], v[56:57] offset0:70 offset1:119
	;; [unrolled: 1-line block ×4, first 2 shown]
	ds_store_b64 v98, v[80:81] offset:2352
	ds_store_2addr_b64 v220, v[68:69], v[88:89] offset0:76 offset1:125
	ds_store_2addr_b64 v221, v[70:71], v[90:91] offset0:163 offset1:212
	;; [unrolled: 1-line block ×5, first 2 shown]
	v_add_nc_u32_e32 v2, 0x4400, v98
	ds_store_2addr_b64 v2, v[4:5], v[0:1] offset0:127 offset1:176
	global_wb scope:SCOPE_SE
	s_wait_dscnt 0x0
	s_barrier_signal -1
	s_barrier_wait -1
	global_inv scope:SCOPE_SE
	s_clause 0x1
	scratch_load_b64 v[1:2], off, off offset:384 th:TH_LOAD_LU
	scratch_load_b32 v4, off, off offset:400 th:TH_LOAD_LU
	ds_load_2addr_b64 v[12:15], v98 offset1:49
	s_clause 0x1
	scratch_load_b64 v[10:11], off, off offset:368 th:TH_LOAD_LU
	scratch_load_b64 v[20:21], off, off offset:360 th:TH_LOAD_LU
	ds_load_2addr_b64 v[6:9], v214 offset0:38 offset1:87
	ds_load_2addr_b64 v[16:19], v220 offset0:174 offset1:223
	s_wait_loadcnt_dscnt 0x302
	v_mul_f32_e32 v0, v2, v13
	v_mov_b32_e32 v3, v2
	v_mov_b32_e32 v2, v1
	s_delay_alu instid0(VALU_DEP_3) | instskip(NEXT) | instid1(VALU_DEP_1)
	v_fmac_f32_e32 v0, v1, v12
	v_cvt_f64_f32_e32 v[0:1], v0
	s_wait_alu 0xfffe
	s_delay_alu instid0(VALU_DEP_1) | instskip(NEXT) | instid1(VALU_DEP_1)
	v_mul_f64_e32 v[0:1], s[6:7], v[0:1]
	v_cvt_f32_f64_e32 v0, v[0:1]
	v_mul_f32_e32 v1, v3, v12
	s_delay_alu instid0(VALU_DEP_1) | instskip(NEXT) | instid1(VALU_DEP_1)
	v_fma_f32 v1, v2, v13, -v1
	v_cvt_f64_f32_e32 v[1:2], v1
	s_delay_alu instid0(VALU_DEP_1) | instskip(NEXT) | instid1(VALU_DEP_1)
	v_mul_f64_e32 v[1:2], s[6:7], v[1:2]
	v_cvt_f32_f64_e32 v1, v[1:2]
	s_wait_loadcnt 0x2
	v_mad_co_u64_u32 v[2:3], null, s0, v4, 0
	s_delay_alu instid0(VALU_DEP_1)
	v_mad_co_u64_u32 v[3:4], null, s1, v4, v[3:4]
	scratch_load_b64 v[4:5], off, off offset:336 th:TH_LOAD_LU ; 8-byte Folded Reload
	s_mul_u64 s[0:1], s[0:1], s[2:3]
	v_lshlrev_b64_e32 v[2:3], 3, v[2:3]
	s_wait_loadcnt 0x0
	v_lshlrev_b64_e32 v[4:5], 3, v[4:5]
	s_delay_alu instid0(VALU_DEP_1) | instskip(SKIP_1) | instid1(VALU_DEP_2)
	v_add_co_u32 v4, vcc_lo, s12, v4
	s_wait_alu 0xfffd
	v_add_co_ci_u32_e32 v5, vcc_lo, s13, v5, vcc_lo
	s_delay_alu instid0(VALU_DEP_2) | instskip(SKIP_1) | instid1(VALU_DEP_2)
	v_add_co_u32 v2, vcc_lo, v4, v2
	s_wait_alu 0xfffd
	v_add_co_ci_u32_e32 v3, vcc_lo, v5, v3, vcc_lo
	scratch_load_b64 v[4:5], off, off offset:344 th:TH_LOAD_LU ; 8-byte Folded Reload
	global_store_b64 v[2:3], v[0:1], off
	v_add_co_u32 v2, vcc_lo, v2, s4
	s_wait_alu 0xfffd
	v_add_co_ci_u32_e32 v3, vcc_lo, s5, v3, vcc_lo
	s_wait_loadcnt_dscnt 0x1
	v_mul_f32_e32 v0, v5, v9
	s_delay_alu instid0(VALU_DEP_1) | instskip(NEXT) | instid1(VALU_DEP_1)
	v_fmac_f32_e32 v0, v4, v8
	v_cvt_f64_f32_e32 v[0:1], v0
	s_delay_alu instid0(VALU_DEP_1) | instskip(NEXT) | instid1(VALU_DEP_1)
	v_mul_f64_e32 v[0:1], s[6:7], v[0:1]
	v_cvt_f32_f64_e32 v0, v[0:1]
	v_mul_f32_e32 v1, v5, v8
	s_delay_alu instid0(VALU_DEP_1) | instskip(NEXT) | instid1(VALU_DEP_1)
	v_fma_f32 v1, v4, v9, -v1
	v_cvt_f64_f32_e32 v[4:5], v1
	s_delay_alu instid0(VALU_DEP_1) | instskip(NEXT) | instid1(VALU_DEP_1)
	v_mul_f64_e32 v[4:5], s[6:7], v[4:5]
	v_cvt_f32_f64_e32 v1, v[4:5]
	scratch_load_b64 v[4:5], off, off offset:352 th:TH_LOAD_LU ; 8-byte Folded Reload
	global_store_b64 v[2:3], v[0:1], off
	s_wait_loadcnt_dscnt 0x0
	v_mul_f32_e32 v0, v5, v17
	s_delay_alu instid0(VALU_DEP_1) | instskip(NEXT) | instid1(VALU_DEP_1)
	v_fmac_f32_e32 v0, v4, v16
	v_cvt_f64_f32_e32 v[0:1], v0
	s_delay_alu instid0(VALU_DEP_1) | instskip(NEXT) | instid1(VALU_DEP_1)
	v_mul_f64_e32 v[0:1], s[6:7], v[0:1]
	v_cvt_f32_f64_e32 v0, v[0:1]
	v_mul_f32_e32 v1, v5, v16
	s_delay_alu instid0(VALU_DEP_1) | instskip(SKIP_2) | instid1(VALU_DEP_1)
	v_fma_f32 v1, v4, v17, -v1
	scratch_load_b64 v[16:17], off, off offset:392 th:TH_LOAD_LU ; 8-byte Folded Reload
	v_cvt_f64_f32_e32 v[4:5], v1
	v_mul_f64_e32 v[4:5], s[6:7], v[4:5]
	s_delay_alu instid0(VALU_DEP_1)
	v_cvt_f32_f64_e32 v1, v[4:5]
	v_add_co_u32 v4, vcc_lo, v2, s4
	s_wait_alu 0xfffd
	v_add_co_ci_u32_e32 v5, vcc_lo, s5, v3, vcc_lo
	global_store_b64 v[4:5], v[0:1], off
	ds_load_2addr_b64 v[0:3], v224 offset0:84 offset1:133
	s_wait_dscnt 0x0
	v_mul_f32_e32 v8, v11, v3
	s_delay_alu instid0(VALU_DEP_1) | instskip(SKIP_1) | instid1(VALU_DEP_2)
	v_fmac_f32_e32 v8, v10, v2
	v_mul_f32_e32 v2, v11, v2
	v_cvt_f64_f32_e32 v[8:9], v8
	s_delay_alu instid0(VALU_DEP_2) | instskip(SKIP_3) | instid1(VALU_DEP_2)
	v_fma_f32 v2, v10, v3, -v2
	ds_load_2addr_b64 v[10:13], v223 offset0:92 offset1:141
	v_cvt_f64_f32_e32 v[2:3], v2
	v_mul_f64_e32 v[8:9], s[6:7], v[8:9]
	v_mul_f64_e32 v[2:3], s[6:7], v[2:3]
	s_delay_alu instid0(VALU_DEP_2) | instskip(NEXT) | instid1(VALU_DEP_2)
	v_cvt_f32_f64_e32 v8, v[8:9]
	v_cvt_f32_f64_e32 v9, v[2:3]
	v_add_co_u32 v2, vcc_lo, v4, s4
	s_wait_alu 0xfffd
	v_add_co_ci_u32_e32 v3, vcc_lo, s5, v5, vcc_lo
	global_store_b64 v[2:3], v[8:9], off
	scratch_load_b64 v[8:9], off, off offset:376 th:TH_LOAD_LU ; 8-byte Folded Reload
	s_wait_loadcnt_dscnt 0x0
	v_mul_f32_e32 v4, v9, v11
	s_delay_alu instid0(VALU_DEP_1) | instskip(NEXT) | instid1(VALU_DEP_1)
	v_fmac_f32_e32 v4, v8, v10
	v_cvt_f64_f32_e32 v[4:5], v4
	s_delay_alu instid0(VALU_DEP_1) | instskip(NEXT) | instid1(VALU_DEP_1)
	v_mul_f64_e32 v[4:5], s[6:7], v[4:5]
	v_cvt_f32_f64_e32 v4, v[4:5]
	v_mul_f32_e32 v5, v9, v10
	s_delay_alu instid0(VALU_DEP_1) | instskip(NEXT) | instid1(VALU_DEP_1)
	v_fma_f32 v5, v8, v11, -v5
	v_cvt_f64_f32_e32 v[8:9], v5
	s_delay_alu instid0(VALU_DEP_1) | instskip(NEXT) | instid1(VALU_DEP_1)
	v_mul_f64_e32 v[8:9], s[6:7], v[8:9]
	v_cvt_f32_f64_e32 v5, v[8:9]
	v_add_co_u32 v8, vcc_lo, v2, s4
	s_wait_alu 0xfffd
	v_add_co_ci_u32_e32 v9, vcc_lo, s5, v3, vcc_lo
	global_store_b64 v[8:9], v[4:5], off
	ds_load_2addr_b64 v[2:5], v213 offset0:130 offset1:179
	s_wait_dscnt 0x0
	v_mul_f32_e32 v10, v17, v5
	s_delay_alu instid0(VALU_DEP_1) | instskip(SKIP_1) | instid1(VALU_DEP_2)
	v_fmac_f32_e32 v10, v16, v4
	v_mul_f32_e32 v4, v17, v4
	v_cvt_f64_f32_e32 v[10:11], v10
	s_delay_alu instid0(VALU_DEP_2) | instskip(NEXT) | instid1(VALU_DEP_1)
	v_fma_f32 v4, v16, v5, -v4
	v_cvt_f64_f32_e32 v[4:5], v4
	s_delay_alu instid0(VALU_DEP_3) | instskip(NEXT) | instid1(VALU_DEP_2)
	v_mul_f64_e32 v[10:11], s[6:7], v[10:11]
	v_mul_f64_e32 v[4:5], s[6:7], v[4:5]
	s_delay_alu instid0(VALU_DEP_2) | instskip(NEXT) | instid1(VALU_DEP_2)
	v_cvt_f32_f64_e32 v10, v[10:11]
	v_cvt_f32_f64_e32 v11, v[4:5]
	v_add_co_u32 v4, vcc_lo, v8, s4
	s_wait_alu 0xfffd
	v_add_co_ci_u32_e32 v5, vcc_lo, s5, v9, vcc_lo
	global_store_b64 v[4:5], v[10:11], off
	ds_load_2addr_b64 v[8:11], v212 offset0:10 offset1:59
	v_add_co_u32 v4, vcc_lo, v4, s4
	s_wait_alu 0xfffd
	v_add_co_ci_u32_e32 v5, vcc_lo, s5, v5, vcc_lo
	s_wait_dscnt 0x0
	v_mul_f32_e32 v16, v21, v9
	s_delay_alu instid0(VALU_DEP_1) | instskip(SKIP_1) | instid1(VALU_DEP_2)
	v_fmac_f32_e32 v16, v20, v8
	v_mul_f32_e32 v8, v21, v8
	v_cvt_f64_f32_e32 v[16:17], v16
	s_delay_alu instid0(VALU_DEP_2) | instskip(SKIP_3) | instid1(VALU_DEP_2)
	v_fma_f32 v8, v20, v9, -v8
	scratch_load_b64 v[20:21], off, off offset:320 th:TH_LOAD_LU ; 8-byte Folded Reload
	v_cvt_f64_f32_e32 v[8:9], v8
	v_mul_f64_e32 v[16:17], s[6:7], v[16:17]
	v_mul_f64_e32 v[8:9], s[6:7], v[8:9]
	s_delay_alu instid0(VALU_DEP_2) | instskip(NEXT) | instid1(VALU_DEP_2)
	v_cvt_f32_f64_e32 v16, v[16:17]
	v_cvt_f32_f64_e32 v17, v[8:9]
	global_store_b64 v[4:5], v[16:17], off
	scratch_load_b64 v[16:17], off, off offset:328 th:TH_LOAD_LU ; 8-byte Folded Reload
	s_wait_alu 0xfffe
	v_add_co_u32 v4, vcc_lo, v4, s0
	s_wait_alu 0xfffd
	v_add_co_ci_u32_e32 v5, vcc_lo, s1, v5, vcc_lo
	s_wait_loadcnt 0x0
	v_mul_f32_e32 v8, v17, v15
	s_delay_alu instid0(VALU_DEP_1) | instskip(NEXT) | instid1(VALU_DEP_1)
	v_fmac_f32_e32 v8, v16, v14
	v_cvt_f64_f32_e32 v[8:9], v8
	s_delay_alu instid0(VALU_DEP_1) | instskip(NEXT) | instid1(VALU_DEP_1)
	v_mul_f64_e32 v[8:9], s[6:7], v[8:9]
	v_cvt_f32_f64_e32 v8, v[8:9]
	v_mul_f32_e32 v9, v17, v14
	s_delay_alu instid0(VALU_DEP_1) | instskip(NEXT) | instid1(VALU_DEP_1)
	v_fma_f32 v9, v16, v15, -v9
	v_cvt_f64_f32_e32 v[14:15], v9
	s_delay_alu instid0(VALU_DEP_1) | instskip(NEXT) | instid1(VALU_DEP_1)
	v_mul_f64_e32 v[14:15], s[6:7], v[14:15]
	v_cvt_f32_f64_e32 v9, v[14:15]
	ds_load_2addr_b64 v[14:17], v214 offset0:136 offset1:185
	global_store_b64 v[4:5], v[8:9], off
	s_wait_dscnt 0x0
	v_mul_f32_e32 v8, v21, v15
	v_add_co_u32 v4, vcc_lo, v4, s4
	s_wait_alu 0xfffd
	v_add_co_ci_u32_e32 v5, vcc_lo, s5, v5, vcc_lo
	s_delay_alu instid0(VALU_DEP_3) | instskip(NEXT) | instid1(VALU_DEP_1)
	v_fmac_f32_e32 v8, v20, v14
	v_cvt_f64_f32_e32 v[8:9], v8
	s_delay_alu instid0(VALU_DEP_1) | instskip(NEXT) | instid1(VALU_DEP_1)
	v_mul_f64_e32 v[8:9], s[6:7], v[8:9]
	v_cvt_f32_f64_e32 v8, v[8:9]
	v_mul_f32_e32 v9, v21, v14
	s_delay_alu instid0(VALU_DEP_1) | instskip(NEXT) | instid1(VALU_DEP_1)
	v_fma_f32 v9, v20, v15, -v9
	v_cvt_f64_f32_e32 v[14:15], v9
	s_delay_alu instid0(VALU_DEP_1) | instskip(NEXT) | instid1(VALU_DEP_1)
	v_mul_f64_e32 v[14:15], s[6:7], v[14:15]
	v_cvt_f32_f64_e32 v9, v[14:15]
	scratch_load_b64 v[14:15], off, off offset:304 th:TH_LOAD_LU ; 8-byte Folded Reload
	global_store_b64 v[4:5], v[8:9], off
	v_add_co_u32 v4, vcc_lo, v4, s4
	s_wait_alu 0xfffd
	v_add_co_ci_u32_e32 v5, vcc_lo, s5, v5, vcc_lo
	s_wait_loadcnt 0x0
	v_mul_f32_e32 v8, v15, v19
	s_delay_alu instid0(VALU_DEP_1) | instskip(NEXT) | instid1(VALU_DEP_1)
	v_fmac_f32_e32 v8, v14, v18
	v_cvt_f64_f32_e32 v[8:9], v8
	s_delay_alu instid0(VALU_DEP_1) | instskip(NEXT) | instid1(VALU_DEP_1)
	v_mul_f64_e32 v[8:9], s[6:7], v[8:9]
	v_cvt_f32_f64_e32 v8, v[8:9]
	v_mul_f32_e32 v9, v15, v18
	s_delay_alu instid0(VALU_DEP_1) | instskip(SKIP_2) | instid1(VALU_DEP_1)
	v_fma_f32 v9, v14, v19, -v9
	ds_load_2addr_b64 v[18:21], v222 offset0:54 offset1:103
	v_cvt_f64_f32_e32 v[14:15], v9
	v_mul_f64_e32 v[14:15], s[6:7], v[14:15]
	s_delay_alu instid0(VALU_DEP_1)
	v_cvt_f32_f64_e32 v9, v[14:15]
	scratch_load_b64 v[14:15], off, off offset:312 th:TH_LOAD_LU ; 8-byte Folded Reload
	global_store_b64 v[4:5], v[8:9], off
	v_add_co_u32 v4, vcc_lo, v4, s4
	s_wait_alu 0xfffd
	v_add_co_ci_u32_e32 v5, vcc_lo, s5, v5, vcc_lo
	s_wait_loadcnt_dscnt 0x0
	v_mul_f32_e32 v8, v15, v19
	s_delay_alu instid0(VALU_DEP_1) | instskip(NEXT) | instid1(VALU_DEP_1)
	v_fmac_f32_e32 v8, v14, v18
	v_cvt_f64_f32_e32 v[8:9], v8
	s_delay_alu instid0(VALU_DEP_1) | instskip(NEXT) | instid1(VALU_DEP_1)
	v_mul_f64_e32 v[8:9], s[6:7], v[8:9]
	v_cvt_f32_f64_e32 v8, v[8:9]
	v_mul_f32_e32 v9, v15, v18
	s_delay_alu instid0(VALU_DEP_1) | instskip(SKIP_2) | instid1(VALU_DEP_1)
	v_fma_f32 v9, v14, v19, -v9
	scratch_load_b64 v[18:19], off, off offset:288 th:TH_LOAD_LU ; 8-byte Folded Reload
	v_cvt_f64_f32_e32 v[14:15], v9
	v_mul_f64_e32 v[14:15], s[6:7], v[14:15]
	s_delay_alu instid0(VALU_DEP_1)
	v_cvt_f32_f64_e32 v9, v[14:15]
	scratch_load_b64 v[14:15], off, off offset:296 th:TH_LOAD_LU ; 8-byte Folded Reload
	global_store_b64 v[4:5], v[8:9], off
	v_add_co_u32 v4, vcc_lo, v4, s4
	s_wait_alu 0xfffd
	v_add_co_ci_u32_e32 v5, vcc_lo, s5, v5, vcc_lo
	s_wait_loadcnt 0x0
	v_mul_f32_e32 v8, v15, v13
	s_delay_alu instid0(VALU_DEP_1) | instskip(NEXT) | instid1(VALU_DEP_1)
	v_fmac_f32_e32 v8, v14, v12
	v_cvt_f64_f32_e32 v[8:9], v8
	s_delay_alu instid0(VALU_DEP_1) | instskip(NEXT) | instid1(VALU_DEP_1)
	v_mul_f64_e32 v[8:9], s[6:7], v[8:9]
	v_cvt_f32_f64_e32 v8, v[8:9]
	v_mul_f32_e32 v9, v15, v12
	s_delay_alu instid0(VALU_DEP_1) | instskip(NEXT) | instid1(VALU_DEP_1)
	v_fma_f32 v9, v14, v13, -v9
	v_cvt_f64_f32_e32 v[12:13], v9
	s_delay_alu instid0(VALU_DEP_1) | instskip(NEXT) | instid1(VALU_DEP_1)
	v_mul_f64_e32 v[12:13], s[6:7], v[12:13]
	v_cvt_f32_f64_e32 v9, v[12:13]
	ds_load_2addr_b64 v[12:15], v225 offset0:100 offset1:149
	global_store_b64 v[4:5], v[8:9], off
	s_wait_dscnt 0x0
	v_mul_f32_e32 v8, v19, v13
	v_add_co_u32 v4, vcc_lo, v4, s4
	s_wait_alu 0xfffd
	v_add_co_ci_u32_e32 v5, vcc_lo, s5, v5, vcc_lo
	s_delay_alu instid0(VALU_DEP_3) | instskip(NEXT) | instid1(VALU_DEP_1)
	v_fmac_f32_e32 v8, v18, v12
	v_cvt_f64_f32_e32 v[8:9], v8
	s_delay_alu instid0(VALU_DEP_1) | instskip(NEXT) | instid1(VALU_DEP_1)
	v_mul_f64_e32 v[8:9], s[6:7], v[8:9]
	v_cvt_f32_f64_e32 v8, v[8:9]
	v_mul_f32_e32 v9, v19, v12
	s_delay_alu instid0(VALU_DEP_1) | instskip(SKIP_2) | instid1(VALU_DEP_1)
	v_fma_f32 v9, v18, v13, -v9
	scratch_load_b64 v[18:19], off, off offset:224 th:TH_LOAD_LU ; 8-byte Folded Reload
	v_cvt_f64_f32_e32 v[12:13], v9
	v_mul_f64_e32 v[12:13], s[6:7], v[12:13]
	s_delay_alu instid0(VALU_DEP_1)
	v_cvt_f32_f64_e32 v9, v[12:13]
	scratch_load_b64 v[12:13], off, off offset:240 th:TH_LOAD_LU ; 8-byte Folded Reload
	global_store_b64 v[4:5], v[8:9], off
	v_add_co_u32 v4, vcc_lo, v4, s4
	s_wait_alu 0xfffd
	v_add_co_ci_u32_e32 v5, vcc_lo, s5, v5, vcc_lo
	s_wait_loadcnt 0x0
	v_mul_f32_e32 v8, v13, v11
	s_delay_alu instid0(VALU_DEP_1) | instskip(NEXT) | instid1(VALU_DEP_1)
	v_fmac_f32_e32 v8, v12, v10
	v_cvt_f64_f32_e32 v[8:9], v8
	s_delay_alu instid0(VALU_DEP_1) | instskip(NEXT) | instid1(VALU_DEP_1)
	v_mul_f64_e32 v[8:9], s[6:7], v[8:9]
	v_cvt_f32_f64_e32 v8, v[8:9]
	v_mul_f32_e32 v9, v13, v10
	s_delay_alu instid0(VALU_DEP_1) | instskip(NEXT) | instid1(VALU_DEP_1)
	v_fma_f32 v9, v12, v11, -v9
	v_cvt_f64_f32_e32 v[9:10], v9
	s_delay_alu instid0(VALU_DEP_1) | instskip(NEXT) | instid1(VALU_DEP_1)
	v_mul_f64_e32 v[9:10], s[6:7], v[9:10]
	v_cvt_f32_f64_e32 v9, v[9:10]
	global_store_b64 v[4:5], v[8:9], off
	ds_load_2addr_b64 v[8:11], v98 offset0:98 offset1:147
	v_add_co_u32 v4, vcc_lo, v4, s0
	s_wait_alu 0xfffd
	v_add_co_ci_u32_e32 v5, vcc_lo, s1, v5, vcc_lo
	s_wait_dscnt 0x0
	v_mul_f32_e32 v12, v19, v9
	s_delay_alu instid0(VALU_DEP_1) | instskip(SKIP_1) | instid1(VALU_DEP_2)
	v_fmac_f32_e32 v12, v18, v8
	v_mul_f32_e32 v8, v19, v8
	v_cvt_f64_f32_e32 v[12:13], v12
	s_delay_alu instid0(VALU_DEP_2) | instskip(NEXT) | instid1(VALU_DEP_1)
	v_fma_f32 v8, v18, v9, -v8
	v_cvt_f64_f32_e32 v[8:9], v8
	s_delay_alu instid0(VALU_DEP_3) | instskip(NEXT) | instid1(VALU_DEP_2)
	v_mul_f64_e32 v[12:13], s[6:7], v[12:13]
	v_mul_f64_e32 v[8:9], s[6:7], v[8:9]
	s_delay_alu instid0(VALU_DEP_2) | instskip(NEXT) | instid1(VALU_DEP_2)
	v_cvt_f32_f64_e32 v12, v[12:13]
	v_cvt_f32_f64_e32 v13, v[8:9]
	global_store_b64 v[4:5], v[12:13], off
	scratch_load_b64 v[12:13], off, off offset:232 th:TH_LOAD_LU ; 8-byte Folded Reload
	v_add_co_u32 v4, vcc_lo, v4, s4
	s_wait_alu 0xfffd
	v_add_co_ci_u32_e32 v5, vcc_lo, s5, v5, vcc_lo
	s_wait_loadcnt 0x0
	v_mul_f32_e32 v8, v13, v17
	s_delay_alu instid0(VALU_DEP_1) | instskip(NEXT) | instid1(VALU_DEP_1)
	v_fmac_f32_e32 v8, v12, v16
	v_cvt_f64_f32_e32 v[8:9], v8
	s_delay_alu instid0(VALU_DEP_1) | instskip(NEXT) | instid1(VALU_DEP_1)
	v_mul_f64_e32 v[8:9], s[6:7], v[8:9]
	v_cvt_f32_f64_e32 v8, v[8:9]
	v_mul_f32_e32 v9, v13, v16
	s_delay_alu instid0(VALU_DEP_1) | instskip(SKIP_2) | instid1(VALU_DEP_1)
	v_fma_f32 v9, v12, v17, -v9
	ds_load_2addr_b64 v[16:19], v221 offset0:16 offset1:65
	v_cvt_f64_f32_e32 v[12:13], v9
	v_mul_f64_e32 v[12:13], s[6:7], v[12:13]
	s_delay_alu instid0(VALU_DEP_1)
	v_cvt_f32_f64_e32 v9, v[12:13]
	scratch_load_b64 v[12:13], off, off offset:264 th:TH_LOAD_LU ; 8-byte Folded Reload
	global_store_b64 v[4:5], v[8:9], off
	v_add_co_u32 v4, vcc_lo, v4, s4
	s_wait_alu 0xfffd
	v_add_co_ci_u32_e32 v5, vcc_lo, s5, v5, vcc_lo
	s_wait_loadcnt_dscnt 0x0
	v_mul_f32_e32 v8, v13, v17
	s_delay_alu instid0(VALU_DEP_1) | instskip(NEXT) | instid1(VALU_DEP_1)
	v_fmac_f32_e32 v8, v12, v16
	v_cvt_f64_f32_e32 v[8:9], v8
	s_delay_alu instid0(VALU_DEP_1) | instskip(NEXT) | instid1(VALU_DEP_1)
	v_mul_f64_e32 v[8:9], s[6:7], v[8:9]
	v_cvt_f32_f64_e32 v8, v[8:9]
	v_mul_f32_e32 v9, v13, v16
	s_delay_alu instid0(VALU_DEP_1) | instskip(SKIP_2) | instid1(VALU_DEP_1)
	v_fma_f32 v9, v12, v17, -v9
	scratch_load_b64 v[16:17], off, off offset:208 th:TH_LOAD_LU ; 8-byte Folded Reload
	v_cvt_f64_f32_e32 v[12:13], v9
	v_mul_f64_e32 v[12:13], s[6:7], v[12:13]
	s_delay_alu instid0(VALU_DEP_1)
	v_cvt_f32_f64_e32 v9, v[12:13]
	scratch_load_b64 v[12:13], off, off offset:272 th:TH_LOAD_LU ; 8-byte Folded Reload
	global_store_b64 v[4:5], v[8:9], off
	v_add_co_u32 v4, vcc_lo, v4, s4
	s_wait_alu 0xfffd
	v_add_co_ci_u32_e32 v5, vcc_lo, s5, v5, vcc_lo
	s_wait_loadcnt 0x0
	v_mul_f32_e32 v8, v13, v21
	s_delay_alu instid0(VALU_DEP_1) | instskip(NEXT) | instid1(VALU_DEP_1)
	v_fmac_f32_e32 v8, v12, v20
	v_cvt_f64_f32_e32 v[8:9], v8
	s_delay_alu instid0(VALU_DEP_1) | instskip(NEXT) | instid1(VALU_DEP_1)
	v_mul_f64_e32 v[8:9], s[6:7], v[8:9]
	v_cvt_f32_f64_e32 v8, v[8:9]
	v_mul_f32_e32 v9, v13, v20
	s_delay_alu instid0(VALU_DEP_1) | instskip(SKIP_2) | instid1(VALU_DEP_1)
	v_fma_f32 v9, v12, v21, -v9
	ds_load_2addr_b64 v[20:23], v223 offset0:190 offset1:239
	v_cvt_f64_f32_e32 v[12:13], v9
	v_mul_f64_e32 v[12:13], s[6:7], v[12:13]
	s_delay_alu instid0(VALU_DEP_1)
	v_cvt_f32_f64_e32 v9, v[12:13]
	scratch_load_b64 v[12:13], off, off offset:280 th:TH_LOAD_LU ; 8-byte Folded Reload
	global_store_b64 v[4:5], v[8:9], off
	v_add_co_u32 v4, vcc_lo, v4, s4
	s_wait_alu 0xfffd
	v_add_co_ci_u32_e32 v5, vcc_lo, s5, v5, vcc_lo
	s_wait_loadcnt_dscnt 0x0
	v_mul_f32_e32 v8, v13, v21
	s_delay_alu instid0(VALU_DEP_1) | instskip(NEXT) | instid1(VALU_DEP_1)
	v_fmac_f32_e32 v8, v12, v20
	v_cvt_f64_f32_e32 v[8:9], v8
	s_delay_alu instid0(VALU_DEP_1) | instskip(NEXT) | instid1(VALU_DEP_1)
	v_mul_f64_e32 v[8:9], s[6:7], v[8:9]
	v_cvt_f32_f64_e32 v8, v[8:9]
	v_mul_f32_e32 v9, v13, v20
	s_delay_alu instid0(VALU_DEP_1) | instskip(NEXT) | instid1(VALU_DEP_1)
	v_fma_f32 v9, v12, v21, -v9
	v_cvt_f64_f32_e32 v[12:13], v9
	s_delay_alu instid0(VALU_DEP_1) | instskip(NEXT) | instid1(VALU_DEP_1)
	v_mul_f64_e32 v[12:13], s[6:7], v[12:13]
	v_cvt_f32_f64_e32 v9, v[12:13]
	scratch_load_b64 v[12:13], off, off offset:216 th:TH_LOAD_LU ; 8-byte Folded Reload
	global_store_b64 v[4:5], v[8:9], off
	v_add_co_u32 v4, vcc_lo, v4, s4
	s_wait_alu 0xfffd
	v_add_co_ci_u32_e32 v5, vcc_lo, s5, v5, vcc_lo
	s_wait_loadcnt 0x0
	v_mul_f32_e32 v8, v13, v15
	s_delay_alu instid0(VALU_DEP_1) | instskip(NEXT) | instid1(VALU_DEP_1)
	v_fmac_f32_e32 v8, v12, v14
	v_cvt_f64_f32_e32 v[8:9], v8
	s_delay_alu instid0(VALU_DEP_1) | instskip(NEXT) | instid1(VALU_DEP_1)
	v_mul_f64_e32 v[8:9], s[6:7], v[8:9]
	v_cvt_f32_f64_e32 v8, v[8:9]
	v_mul_f32_e32 v9, v13, v14
	s_delay_alu instid0(VALU_DEP_1) | instskip(NEXT) | instid1(VALU_DEP_1)
	v_fma_f32 v9, v12, v15, -v9
	v_cvt_f64_f32_e32 v[12:13], v9
	s_delay_alu instid0(VALU_DEP_1) | instskip(NEXT) | instid1(VALU_DEP_1)
	v_mul_f64_e32 v[12:13], s[6:7], v[12:13]
	v_cvt_f32_f64_e32 v9, v[12:13]
	ds_load_2addr_b64 v[12:15], v212 offset0:108 offset1:157
	global_store_b64 v[4:5], v[8:9], off
	s_wait_dscnt 0x0
	v_mul_f32_e32 v8, v17, v13
	v_add_co_u32 v4, vcc_lo, v4, s4
	s_wait_alu 0xfffd
	v_add_co_ci_u32_e32 v5, vcc_lo, s5, v5, vcc_lo
	s_delay_alu instid0(VALU_DEP_3) | instskip(NEXT) | instid1(VALU_DEP_1)
	v_fmac_f32_e32 v8, v16, v12
	v_cvt_f64_f32_e32 v[8:9], v8
	s_delay_alu instid0(VALU_DEP_1) | instskip(NEXT) | instid1(VALU_DEP_1)
	v_mul_f64_e32 v[8:9], s[6:7], v[8:9]
	v_cvt_f32_f64_e32 v8, v[8:9]
	v_mul_f32_e32 v9, v17, v12
	s_delay_alu instid0(VALU_DEP_1) | instskip(SKIP_2) | instid1(VALU_DEP_1)
	v_fma_f32 v9, v16, v13, -v9
	scratch_load_b64 v[16:17], off, off offset:248 th:TH_LOAD_LU ; 8-byte Folded Reload
	v_cvt_f64_f32_e32 v[12:13], v9
	v_mul_f64_e32 v[12:13], s[6:7], v[12:13]
	s_delay_alu instid0(VALU_DEP_1)
	v_cvt_f32_f64_e32 v9, v[12:13]
	scratch_load_b64 v[12:13], off, off offset:256 th:TH_LOAD_LU ; 8-byte Folded Reload
	global_store_b64 v[4:5], v[8:9], off
	v_add_co_u32 v4, vcc_lo, v4, s0
	s_wait_alu 0xfffd
	v_add_co_ci_u32_e32 v5, vcc_lo, s1, v5, vcc_lo
	s_wait_loadcnt 0x0
	v_mul_f32_e32 v8, v13, v11
	s_delay_alu instid0(VALU_DEP_1) | instskip(NEXT) | instid1(VALU_DEP_1)
	v_fmac_f32_e32 v8, v12, v10
	v_cvt_f64_f32_e32 v[8:9], v8
	s_delay_alu instid0(VALU_DEP_1) | instskip(NEXT) | instid1(VALU_DEP_1)
	v_mul_f64_e32 v[8:9], s[6:7], v[8:9]
	v_cvt_f32_f64_e32 v8, v[8:9]
	v_mul_f32_e32 v9, v13, v10
	s_delay_alu instid0(VALU_DEP_1) | instskip(NEXT) | instid1(VALU_DEP_1)
	v_fma_f32 v9, v12, v11, -v9
	v_cvt_f64_f32_e32 v[9:10], v9
	s_delay_alu instid0(VALU_DEP_1) | instskip(NEXT) | instid1(VALU_DEP_1)
	v_mul_f64_e32 v[9:10], s[6:7], v[9:10]
	v_cvt_f32_f64_e32 v9, v[9:10]
	global_store_b64 v[4:5], v[8:9], off
	ds_load_2addr_b64 v[8:11], v111 offset0:106 offset1:155
	v_add_co_u32 v4, vcc_lo, v4, s4
	s_wait_alu 0xfffd
	v_add_co_ci_u32_e32 v5, vcc_lo, s5, v5, vcc_lo
	s_wait_dscnt 0x0
	v_mul_f32_e32 v12, v17, v9
	s_delay_alu instid0(VALU_DEP_1) | instskip(SKIP_1) | instid1(VALU_DEP_2)
	v_fmac_f32_e32 v12, v16, v8
	v_mul_f32_e32 v8, v17, v8
	v_cvt_f64_f32_e32 v[12:13], v12
	s_delay_alu instid0(VALU_DEP_2) | instskip(NEXT) | instid1(VALU_DEP_1)
	v_fma_f32 v8, v16, v9, -v8
	v_cvt_f64_f32_e32 v[8:9], v8
	s_delay_alu instid0(VALU_DEP_3) | instskip(NEXT) | instid1(VALU_DEP_2)
	v_mul_f64_e32 v[12:13], s[6:7], v[12:13]
	v_mul_f64_e32 v[8:9], s[6:7], v[8:9]
	s_delay_alu instid0(VALU_DEP_2) | instskip(NEXT) | instid1(VALU_DEP_2)
	v_cvt_f32_f64_e32 v12, v[12:13]
	v_cvt_f32_f64_e32 v13, v[8:9]
	global_store_b64 v[4:5], v[12:13], off
	scratch_load_b64 v[12:13], off, off offset:192 th:TH_LOAD_LU ; 8-byte Folded Reload
	v_add_co_u32 v4, vcc_lo, v4, s4
	s_wait_alu 0xfffd
	v_add_co_ci_u32_e32 v5, vcc_lo, s5, v5, vcc_lo
	s_wait_loadcnt 0x0
	v_mul_f32_e32 v8, v13, v19
	s_delay_alu instid0(VALU_DEP_1) | instskip(NEXT) | instid1(VALU_DEP_1)
	v_fmac_f32_e32 v8, v12, v18
	v_cvt_f64_f32_e32 v[8:9], v8
	s_delay_alu instid0(VALU_DEP_1) | instskip(NEXT) | instid1(VALU_DEP_1)
	v_mul_f64_e32 v[8:9], s[6:7], v[8:9]
	v_cvt_f32_f64_e32 v8, v[8:9]
	v_mul_f32_e32 v9, v13, v18
	s_delay_alu instid0(VALU_DEP_1) | instskip(SKIP_2) | instid1(VALU_DEP_1)
	v_fma_f32 v9, v12, v19, -v9
	ds_load_2addr_b64 v[16:19], v222 offset0:152 offset1:201
	v_cvt_f64_f32_e32 v[12:13], v9
	v_mul_f64_e32 v[12:13], s[6:7], v[12:13]
	s_delay_alu instid0(VALU_DEP_1)
	v_cvt_f32_f64_e32 v9, v[12:13]
	scratch_load_b64 v[12:13], off, off offset:200 th:TH_LOAD_LU ; 8-byte Folded Reload
	global_store_b64 v[4:5], v[8:9], off
	v_add_co_u32 v4, vcc_lo, v4, s4
	s_wait_alu 0xfffd
	v_add_co_ci_u32_e32 v5, vcc_lo, s5, v5, vcc_lo
	s_wait_loadcnt_dscnt 0x0
	v_mul_f32_e32 v8, v13, v17
	s_delay_alu instid0(VALU_DEP_1) | instskip(NEXT) | instid1(VALU_DEP_1)
	v_fmac_f32_e32 v8, v12, v16
	v_cvt_f64_f32_e32 v[8:9], v8
	s_delay_alu instid0(VALU_DEP_1) | instskip(NEXT) | instid1(VALU_DEP_1)
	v_mul_f64_e32 v[8:9], s[6:7], v[8:9]
	v_cvt_f32_f64_e32 v8, v[8:9]
	v_mul_f32_e32 v9, v13, v16
	s_delay_alu instid0(VALU_DEP_1) | instskip(SKIP_2) | instid1(VALU_DEP_1)
	v_fma_f32 v9, v12, v17, -v9
	scratch_load_b64 v[16:17], off, off offset:160 th:TH_LOAD_LU ; 8-byte Folded Reload
	v_cvt_f64_f32_e32 v[12:13], v9
	v_mul_f64_e32 v[12:13], s[6:7], v[12:13]
	s_delay_alu instid0(VALU_DEP_1)
	v_cvt_f32_f64_e32 v9, v[12:13]
	scratch_load_b64 v[12:13], off, off offset:176 th:TH_LOAD_LU ; 8-byte Folded Reload
	global_store_b64 v[4:5], v[8:9], off
	v_add_co_u32 v4, vcc_lo, v4, s4
	s_wait_alu 0xfffd
	v_add_co_ci_u32_e32 v5, vcc_lo, s5, v5, vcc_lo
	s_wait_loadcnt 0x0
	v_mul_f32_e32 v8, v13, v23
	s_delay_alu instid0(VALU_DEP_1) | instskip(NEXT) | instid1(VALU_DEP_1)
	v_fmac_f32_e32 v8, v12, v22
	v_cvt_f64_f32_e32 v[8:9], v8
	s_delay_alu instid0(VALU_DEP_1) | instskip(NEXT) | instid1(VALU_DEP_1)
	v_mul_f64_e32 v[8:9], s[6:7], v[8:9]
	v_cvt_f32_f64_e32 v8, v[8:9]
	v_mul_f32_e32 v9, v13, v22
	s_delay_alu instid0(VALU_DEP_1) | instskip(SKIP_2) | instid1(VALU_DEP_1)
	v_fma_f32 v9, v12, v23, -v9
	ds_load_2addr_b64 v[20:23], v215 offset0:70 offset1:119
	v_cvt_f64_f32_e32 v[12:13], v9
	v_mul_f64_e32 v[12:13], s[6:7], v[12:13]
	s_delay_alu instid0(VALU_DEP_1)
	v_cvt_f32_f64_e32 v9, v[12:13]
	scratch_load_b64 v[12:13], off, off offset:184 th:TH_LOAD_LU ; 8-byte Folded Reload
	global_store_b64 v[4:5], v[8:9], off
	v_add_co_u32 v4, vcc_lo, v4, s4
	s_wait_alu 0xfffd
	v_add_co_ci_u32_e32 v5, vcc_lo, s5, v5, vcc_lo
	s_wait_loadcnt_dscnt 0x0
	v_mul_f32_e32 v8, v13, v21
	s_delay_alu instid0(VALU_DEP_1) | instskip(NEXT) | instid1(VALU_DEP_1)
	v_fmac_f32_e32 v8, v12, v20
	v_cvt_f64_f32_e32 v[8:9], v8
	s_delay_alu instid0(VALU_DEP_1) | instskip(NEXT) | instid1(VALU_DEP_1)
	v_mul_f64_e32 v[8:9], s[6:7], v[8:9]
	v_cvt_f32_f64_e32 v8, v[8:9]
	v_mul_f32_e32 v9, v13, v20
	s_delay_alu instid0(VALU_DEP_1) | instskip(NEXT) | instid1(VALU_DEP_1)
	v_fma_f32 v9, v12, v21, -v9
	v_cvt_f64_f32_e32 v[12:13], v9
	s_delay_alu instid0(VALU_DEP_1) | instskip(NEXT) | instid1(VALU_DEP_1)
	v_mul_f64_e32 v[12:13], s[6:7], v[12:13]
	v_cvt_f32_f64_e32 v9, v[12:13]
	scratch_load_b64 v[12:13], off, off offset:168 th:TH_LOAD_LU ; 8-byte Folded Reload
	global_store_b64 v[4:5], v[8:9], off
	v_add_co_u32 v4, vcc_lo, v4, s4
	s_wait_alu 0xfffd
	v_add_co_ci_u32_e32 v5, vcc_lo, s5, v5, vcc_lo
	s_wait_loadcnt 0x0
	v_mul_f32_e32 v8, v13, v15
	s_delay_alu instid0(VALU_DEP_1) | instskip(NEXT) | instid1(VALU_DEP_1)
	v_fmac_f32_e32 v8, v12, v14
	v_cvt_f64_f32_e32 v[8:9], v8
	s_delay_alu instid0(VALU_DEP_1) | instskip(NEXT) | instid1(VALU_DEP_1)
	v_mul_f64_e32 v[8:9], s[6:7], v[8:9]
	v_cvt_f32_f64_e32 v8, v[8:9]
	v_mul_f32_e32 v9, v13, v14
	s_delay_alu instid0(VALU_DEP_1) | instskip(NEXT) | instid1(VALU_DEP_1)
	v_fma_f32 v9, v12, v15, -v9
	v_cvt_f64_f32_e32 v[12:13], v9
	s_delay_alu instid0(VALU_DEP_1) | instskip(NEXT) | instid1(VALU_DEP_1)
	v_mul_f64_e32 v[12:13], s[6:7], v[12:13]
	v_cvt_f32_f64_e32 v9, v[12:13]
	ds_load_2addr_b64 v[12:15], v98 offset0:196 offset1:245
	global_store_b64 v[4:5], v[8:9], off
	s_wait_dscnt 0x0
	v_mul_f32_e32 v8, v17, v13
	v_add_co_u32 v4, vcc_lo, v4, s0
	s_wait_alu 0xfffd
	v_add_co_ci_u32_e32 v5, vcc_lo, s1, v5, vcc_lo
	s_delay_alu instid0(VALU_DEP_3) | instskip(NEXT) | instid1(VALU_DEP_1)
	v_fmac_f32_e32 v8, v16, v12
	v_cvt_f64_f32_e32 v[8:9], v8
	s_delay_alu instid0(VALU_DEP_1) | instskip(NEXT) | instid1(VALU_DEP_1)
	v_mul_f64_e32 v[8:9], s[6:7], v[8:9]
	v_cvt_f32_f64_e32 v8, v[8:9]
	v_mul_f32_e32 v9, v17, v12
	s_delay_alu instid0(VALU_DEP_1) | instskip(SKIP_2) | instid1(VALU_DEP_1)
	v_fma_f32 v9, v16, v13, -v9
	scratch_load_b64 v[16:17], off, off offset:152 th:TH_LOAD_LU ; 8-byte Folded Reload
	v_cvt_f64_f32_e32 v[12:13], v9
	v_mul_f64_e32 v[12:13], s[6:7], v[12:13]
	s_delay_alu instid0(VALU_DEP_1)
	v_cvt_f32_f64_e32 v9, v[12:13]
	scratch_load_b64 v[12:13], off, off offset:144 th:TH_LOAD_LU ; 8-byte Folded Reload
	global_store_b64 v[4:5], v[8:9], off
	v_add_co_u32 v4, vcc_lo, v4, s4
	s_wait_alu 0xfffd
	v_add_co_ci_u32_e32 v5, vcc_lo, s5, v5, vcc_lo
	s_wait_loadcnt 0x0
	v_mul_f32_e32 v8, v13, v11
	s_delay_alu instid0(VALU_DEP_1) | instskip(NEXT) | instid1(VALU_DEP_1)
	v_fmac_f32_e32 v8, v12, v10
	v_cvt_f64_f32_e32 v[8:9], v8
	s_delay_alu instid0(VALU_DEP_1) | instskip(NEXT) | instid1(VALU_DEP_1)
	v_mul_f64_e32 v[8:9], s[6:7], v[8:9]
	v_cvt_f32_f64_e32 v8, v[8:9]
	v_mul_f32_e32 v9, v13, v10
	s_delay_alu instid0(VALU_DEP_1) | instskip(NEXT) | instid1(VALU_DEP_1)
	v_fma_f32 v9, v12, v11, -v9
	v_cvt_f64_f32_e32 v[9:10], v9
	s_delay_alu instid0(VALU_DEP_1) | instskip(NEXT) | instid1(VALU_DEP_1)
	v_mul_f64_e32 v[9:10], s[6:7], v[9:10]
	v_cvt_f32_f64_e32 v9, v[9:10]
	ds_load_2addr_b64 v[10:13], v221 offset0:114 offset1:163
	global_store_b64 v[4:5], v[8:9], off
	s_wait_dscnt 0x0
	v_mul_f32_e32 v8, v17, v11
	v_add_co_u32 v4, vcc_lo, v4, s4
	s_wait_alu 0xfffd
	v_add_co_ci_u32_e32 v5, vcc_lo, s5, v5, vcc_lo
	s_delay_alu instid0(VALU_DEP_3) | instskip(NEXT) | instid1(VALU_DEP_1)
	v_fmac_f32_e32 v8, v16, v10
	v_cvt_f64_f32_e32 v[8:9], v8
	s_delay_alu instid0(VALU_DEP_1) | instskip(NEXT) | instid1(VALU_DEP_1)
	v_mul_f64_e32 v[8:9], s[6:7], v[8:9]
	v_cvt_f32_f64_e32 v8, v[8:9]
	v_mul_f32_e32 v9, v17, v10
	s_delay_alu instid0(VALU_DEP_1) | instskip(NEXT) | instid1(VALU_DEP_1)
	v_fma_f32 v9, v16, v11, -v9
	v_cvt_f64_f32_e32 v[9:10], v9
	s_delay_alu instid0(VALU_DEP_1) | instskip(NEXT) | instid1(VALU_DEP_1)
	v_mul_f64_e32 v[9:10], s[6:7], v[9:10]
	v_cvt_f32_f64_e32 v9, v[9:10]
	scratch_load_b64 v[10:11], off, off offset:128 th:TH_LOAD_LU ; 8-byte Folded Reload
	global_store_b64 v[4:5], v[8:9], off
	v_add_co_u32 v4, vcc_lo, v4, s4
	s_wait_alu 0xfffd
	v_add_co_ci_u32_e32 v5, vcc_lo, s5, v5, vcc_lo
	s_wait_loadcnt 0x0
	v_mul_f32_e32 v8, v11, v19
	s_delay_alu instid0(VALU_DEP_1) | instskip(NEXT) | instid1(VALU_DEP_1)
	v_fmac_f32_e32 v8, v10, v18
	v_cvt_f64_f32_e32 v[8:9], v8
	s_delay_alu instid0(VALU_DEP_1) | instskip(NEXT) | instid1(VALU_DEP_1)
	v_mul_f64_e32 v[8:9], s[6:7], v[8:9]
	v_cvt_f32_f64_e32 v8, v[8:9]
	v_mul_f32_e32 v9, v11, v18
	s_delay_alu instid0(VALU_DEP_1) | instskip(SKIP_2) | instid1(VALU_DEP_1)
	v_fma_f32 v9, v10, v19, -v9
	ds_load_2addr_b64 v[16:19], v213 offset0:32 offset1:81
	v_cvt_f64_f32_e32 v[9:10], v9
	v_mul_f64_e32 v[9:10], s[6:7], v[9:10]
	s_delay_alu instid0(VALU_DEP_1)
	v_cvt_f32_f64_e32 v9, v[9:10]
	scratch_load_b64 v[10:11], off, off offset:136 th:TH_LOAD_LU ; 8-byte Folded Reload
	global_store_b64 v[4:5], v[8:9], off
	v_add_co_u32 v4, vcc_lo, v4, s4
	s_wait_alu 0xfffd
	v_add_co_ci_u32_e32 v5, vcc_lo, s5, v5, vcc_lo
	s_wait_loadcnt_dscnt 0x0
	v_mul_f32_e32 v8, v11, v17
	s_delay_alu instid0(VALU_DEP_1) | instskip(NEXT) | instid1(VALU_DEP_1)
	v_fmac_f32_e32 v8, v10, v16
	v_cvt_f64_f32_e32 v[8:9], v8
	s_delay_alu instid0(VALU_DEP_1) | instskip(NEXT) | instid1(VALU_DEP_1)
	v_mul_f64_e32 v[8:9], s[6:7], v[8:9]
	v_cvt_f32_f64_e32 v8, v[8:9]
	v_mul_f32_e32 v9, v11, v16
	s_delay_alu instid0(VALU_DEP_1) | instskip(SKIP_2) | instid1(VALU_DEP_1)
	v_fma_f32 v9, v10, v17, -v9
	scratch_load_b64 v[16:17], off, off offset:96 th:TH_LOAD_LU ; 8-byte Folded Reload
	v_cvt_f64_f32_e32 v[9:10], v9
	v_mul_f64_e32 v[9:10], s[6:7], v[9:10]
	s_delay_alu instid0(VALU_DEP_1)
	v_cvt_f32_f64_e32 v9, v[9:10]
	global_store_b64 v[4:5], v[8:9], off
	scratch_load_b64 v[9:10], off, off offset:120 th:TH_LOAD_LU ; 8-byte Folded Reload
	v_add_co_u32 v4, vcc_lo, v4, s4
	s_wait_alu 0xfffd
	v_add_co_ci_u32_e32 v5, vcc_lo, s5, v5, vcc_lo
	s_wait_loadcnt 0x0
	v_mul_f32_e32 v8, v10, v23
	v_mov_b32_e32 v11, v10
	v_mov_b32_e32 v10, v9
	s_delay_alu instid0(VALU_DEP_3) | instskip(NEXT) | instid1(VALU_DEP_1)
	v_fmac_f32_e32 v8, v9, v22
	v_cvt_f64_f32_e32 v[8:9], v8
	s_delay_alu instid0(VALU_DEP_1) | instskip(NEXT) | instid1(VALU_DEP_1)
	v_mul_f64_e32 v[8:9], s[6:7], v[8:9]
	v_cvt_f32_f64_e32 v8, v[8:9]
	v_mul_f32_e32 v9, v11, v22
	s_delay_alu instid0(VALU_DEP_1) | instskip(SKIP_2) | instid1(VALU_DEP_1)
	v_fma_f32 v9, v10, v23, -v9
	ds_load_2addr_b64 v[20:23], v212 offset0:206 offset1:255
	v_cvt_f64_f32_e32 v[9:10], v9
	v_mul_f64_e32 v[9:10], s[6:7], v[9:10]
	s_delay_alu instid0(VALU_DEP_1)
	v_cvt_f32_f64_e32 v9, v[9:10]
	scratch_load_b64 v[10:11], off, off offset:104 th:TH_LOAD_LU ; 8-byte Folded Reload
	global_store_b64 v[4:5], v[8:9], off
	v_add_co_u32 v4, vcc_lo, v4, s4
	s_wait_alu 0xfffd
	v_add_co_ci_u32_e32 v5, vcc_lo, s5, v5, vcc_lo
	s_wait_loadcnt_dscnt 0x0
	v_mul_f32_e32 v8, v11, v21
	s_delay_alu instid0(VALU_DEP_1) | instskip(NEXT) | instid1(VALU_DEP_1)
	v_fmac_f32_e32 v8, v10, v20
	v_cvt_f64_f32_e32 v[8:9], v8
	s_delay_alu instid0(VALU_DEP_1) | instskip(NEXT) | instid1(VALU_DEP_1)
	v_mul_f64_e32 v[8:9], s[6:7], v[8:9]
	v_cvt_f32_f64_e32 v8, v[8:9]
	v_mul_f32_e32 v9, v11, v20
	s_delay_alu instid0(VALU_DEP_1) | instskip(NEXT) | instid1(VALU_DEP_1)
	v_fma_f32 v9, v10, v21, -v9
	v_cvt_f64_f32_e32 v[9:10], v9
	s_delay_alu instid0(VALU_DEP_1) | instskip(NEXT) | instid1(VALU_DEP_1)
	v_mul_f64_e32 v[9:10], s[6:7], v[9:10]
	v_cvt_f32_f64_e32 v9, v[9:10]
	scratch_load_b64 v[10:11], off, off offset:112 th:TH_LOAD_LU ; 8-byte Folded Reload
	global_store_b64 v[4:5], v[8:9], off
	v_add_co_u32 v4, vcc_lo, v4, s0
	s_wait_alu 0xfffd
	v_add_co_ci_u32_e32 v5, vcc_lo, s1, v5, vcc_lo
	s_wait_loadcnt 0x0
	v_mul_f32_e32 v8, v11, v15
	s_delay_alu instid0(VALU_DEP_1) | instskip(NEXT) | instid1(VALU_DEP_1)
	v_fmac_f32_e32 v8, v10, v14
	v_cvt_f64_f32_e32 v[8:9], v8
	s_delay_alu instid0(VALU_DEP_1) | instskip(NEXT) | instid1(VALU_DEP_1)
	v_mul_f64_e32 v[8:9], s[6:7], v[8:9]
	v_cvt_f32_f64_e32 v8, v[8:9]
	v_mul_f32_e32 v9, v11, v14
	s_delay_alu instid0(VALU_DEP_1) | instskip(NEXT) | instid1(VALU_DEP_1)
	v_fma_f32 v9, v10, v15, -v9
	v_cvt_f64_f32_e32 v[9:10], v9
	s_delay_alu instid0(VALU_DEP_1) | instskip(NEXT) | instid1(VALU_DEP_1)
	v_mul_f64_e32 v[9:10], s[6:7], v[9:10]
	v_cvt_f32_f64_e32 v9, v[9:10]
	global_store_b64 v[4:5], v[8:9], off
	ds_load_2addr_b64 v[8:11], v220 offset0:76 offset1:125
	v_add_co_u32 v4, vcc_lo, v4, s4
	s_wait_alu 0xfffd
	v_add_co_ci_u32_e32 v5, vcc_lo, s5, v5, vcc_lo
	s_wait_dscnt 0x0
	v_mul_f32_e32 v14, v17, v9
	s_delay_alu instid0(VALU_DEP_1) | instskip(SKIP_1) | instid1(VALU_DEP_2)
	v_fmac_f32_e32 v14, v16, v8
	v_mul_f32_e32 v8, v17, v8
	v_cvt_f64_f32_e32 v[14:15], v14
	s_delay_alu instid0(VALU_DEP_2) | instskip(SKIP_3) | instid1(VALU_DEP_2)
	v_fma_f32 v8, v16, v9, -v8
	scratch_load_b64 v[16:17], off, off offset:88 th:TH_LOAD_LU ; 8-byte Folded Reload
	v_cvt_f64_f32_e32 v[8:9], v8
	v_mul_f64_e32 v[14:15], s[6:7], v[14:15]
	v_mul_f64_e32 v[8:9], s[6:7], v[8:9]
	s_delay_alu instid0(VALU_DEP_2) | instskip(NEXT) | instid1(VALU_DEP_2)
	v_cvt_f32_f64_e32 v14, v[14:15]
	v_cvt_f32_f64_e32 v15, v[8:9]
	global_store_b64 v[4:5], v[14:15], off
	scratch_load_b64 v[14:15], off, off offset:80 th:TH_LOAD_LU ; 8-byte Folded Reload
	v_add_co_u32 v4, vcc_lo, v4, s4
	s_wait_alu 0xfffd
	v_add_co_ci_u32_e32 v5, vcc_lo, s5, v5, vcc_lo
	s_wait_loadcnt 0x0
	v_mul_f32_e32 v8, v15, v13
	s_delay_alu instid0(VALU_DEP_1) | instskip(NEXT) | instid1(VALU_DEP_1)
	v_fmac_f32_e32 v8, v14, v12
	v_cvt_f64_f32_e32 v[8:9], v8
	s_delay_alu instid0(VALU_DEP_1) | instskip(NEXT) | instid1(VALU_DEP_1)
	v_mul_f64_e32 v[8:9], s[6:7], v[8:9]
	v_cvt_f32_f64_e32 v8, v[8:9]
	v_mul_f32_e32 v9, v15, v12
	s_delay_alu instid0(VALU_DEP_1) | instskip(NEXT) | instid1(VALU_DEP_1)
	v_fma_f32 v9, v14, v13, -v9
	v_cvt_f64_f32_e32 v[12:13], v9
	s_delay_alu instid0(VALU_DEP_1) | instskip(NEXT) | instid1(VALU_DEP_1)
	v_mul_f64_e32 v[12:13], s[6:7], v[12:13]
	v_cvt_f32_f64_e32 v9, v[12:13]
	ds_load_2addr_b64 v[12:15], v128 offset0:122 offset1:171
	global_store_b64 v[4:5], v[8:9], off
	s_wait_dscnt 0x0
	v_mul_f32_e32 v8, v17, v13
	v_add_co_u32 v4, vcc_lo, v4, s4
	s_wait_alu 0xfffd
	v_add_co_ci_u32_e32 v5, vcc_lo, s5, v5, vcc_lo
	s_delay_alu instid0(VALU_DEP_3) | instskip(NEXT) | instid1(VALU_DEP_1)
	v_fmac_f32_e32 v8, v16, v12
	v_cvt_f64_f32_e32 v[8:9], v8
	s_delay_alu instid0(VALU_DEP_1) | instskip(NEXT) | instid1(VALU_DEP_1)
	v_mul_f64_e32 v[8:9], s[6:7], v[8:9]
	v_cvt_f32_f64_e32 v8, v[8:9]
	v_mul_f32_e32 v9, v17, v12
	s_delay_alu instid0(VALU_DEP_1) | instskip(NEXT) | instid1(VALU_DEP_1)
	v_fma_f32 v9, v16, v13, -v9
	v_cvt_f64_f32_e32 v[12:13], v9
	s_delay_alu instid0(VALU_DEP_1) | instskip(NEXT) | instid1(VALU_DEP_1)
	v_mul_f64_e32 v[12:13], s[6:7], v[12:13]
	v_cvt_f32_f64_e32 v9, v[12:13]
	scratch_load_b64 v[12:13], off, off offset:64 th:TH_LOAD_LU ; 8-byte Folded Reload
	global_store_b64 v[4:5], v[8:9], off
	v_add_co_u32 v4, vcc_lo, v4, s4
	s_wait_alu 0xfffd
	v_add_co_ci_u32_e32 v5, vcc_lo, s5, v5, vcc_lo
	s_wait_loadcnt 0x0
	v_mul_f32_e32 v8, v13, v19
	s_delay_alu instid0(VALU_DEP_1) | instskip(NEXT) | instid1(VALU_DEP_1)
	v_fmac_f32_e32 v8, v12, v18
	v_cvt_f64_f32_e32 v[8:9], v8
	s_delay_alu instid0(VALU_DEP_1) | instskip(NEXT) | instid1(VALU_DEP_1)
	v_mul_f64_e32 v[8:9], s[6:7], v[8:9]
	v_cvt_f32_f64_e32 v8, v[8:9]
	v_mul_f32_e32 v9, v13, v18
	s_delay_alu instid0(VALU_DEP_1) | instskip(SKIP_2) | instid1(VALU_DEP_1)
	v_fma_f32 v9, v12, v19, -v9
	ds_load_2addr_b64 v[16:19], v215 offset0:168 offset1:217
	v_cvt_f64_f32_e32 v[12:13], v9
	v_mul_f64_e32 v[12:13], s[6:7], v[12:13]
	s_delay_alu instid0(VALU_DEP_1)
	v_cvt_f32_f64_e32 v9, v[12:13]
	scratch_load_b64 v[12:13], off, off offset:72 th:TH_LOAD_LU ; 8-byte Folded Reload
	global_store_b64 v[4:5], v[8:9], off
	v_add_co_u32 v4, vcc_lo, v4, s4
	s_wait_alu 0xfffd
	v_add_co_ci_u32_e32 v5, vcc_lo, s5, v5, vcc_lo
	s_wait_loadcnt_dscnt 0x0
	v_mul_f32_e32 v8, v13, v17
	s_delay_alu instid0(VALU_DEP_1) | instskip(NEXT) | instid1(VALU_DEP_1)
	v_fmac_f32_e32 v8, v12, v16
	v_cvt_f64_f32_e32 v[8:9], v8
	s_delay_alu instid0(VALU_DEP_1) | instskip(NEXT) | instid1(VALU_DEP_1)
	v_mul_f64_e32 v[8:9], s[6:7], v[8:9]
	v_cvt_f32_f64_e32 v8, v[8:9]
	v_mul_f32_e32 v9, v13, v16
	s_delay_alu instid0(VALU_DEP_1) | instskip(NEXT) | instid1(VALU_DEP_1)
	v_fma_f32 v9, v12, v17, -v9
	v_cvt_f64_f32_e32 v[12:13], v9
	s_delay_alu instid0(VALU_DEP_1) | instskip(NEXT) | instid1(VALU_DEP_1)
	v_mul_f64_e32 v[12:13], s[6:7], v[12:13]
	v_cvt_f32_f64_e32 v9, v[12:13]
	scratch_load_b64 v[12:13], off, off offset:56 th:TH_LOAD_LU ; 8-byte Folded Reload
	global_store_b64 v[4:5], v[8:9], off
	v_add_co_u32 v4, vcc_lo, v4, s4
	s_wait_alu 0xfffd
	v_add_co_ci_u32_e32 v5, vcc_lo, s5, v5, vcc_lo
	s_wait_loadcnt 0x0
	v_mul_f32_e32 v8, v13, v23
	s_delay_alu instid0(VALU_DEP_1) | instskip(NEXT) | instid1(VALU_DEP_1)
	v_fmac_f32_e32 v8, v12, v22
	v_cvt_f64_f32_e32 v[8:9], v8
	s_delay_alu instid0(VALU_DEP_1) | instskip(NEXT) | instid1(VALU_DEP_1)
	v_mul_f64_e32 v[8:9], s[6:7], v[8:9]
	v_cvt_f32_f64_e32 v8, v[8:9]
	v_mul_f32_e32 v9, v13, v22
	s_delay_alu instid0(VALU_DEP_1) | instskip(NEXT) | instid1(VALU_DEP_1)
	v_fma_f32 v9, v12, v23, -v9
	v_cvt_f64_f32_e32 v[12:13], v9
	s_delay_alu instid0(VALU_DEP_1) | instskip(NEXT) | instid1(VALU_DEP_1)
	v_mul_f64_e32 v[12:13], s[6:7], v[12:13]
	v_cvt_f32_f64_e32 v9, v[12:13]
	scratch_load_b64 v[12:13], off, off th:TH_LOAD_LU ; 8-byte Folded Reload
	global_store_b64 v[4:5], v[8:9], off
	v_add_co_u32 v4, vcc_lo, v4, s0
	s_wait_alu 0xfffd
	v_add_co_ci_u32_e32 v5, vcc_lo, s1, v5, vcc_lo
	s_wait_loadcnt 0x0
	v_mul_f32_e32 v8, v13, v7
	s_delay_alu instid0(VALU_DEP_1) | instskip(SKIP_1) | instid1(VALU_DEP_2)
	v_fmac_f32_e32 v8, v12, v6
	v_mul_f32_e32 v6, v13, v6
	v_cvt_f64_f32_e32 v[8:9], v8
	s_delay_alu instid0(VALU_DEP_2) | instskip(NEXT) | instid1(VALU_DEP_1)
	v_fma_f32 v6, v12, v7, -v6
	v_cvt_f64_f32_e32 v[6:7], v6
	s_delay_alu instid0(VALU_DEP_3) | instskip(NEXT) | instid1(VALU_DEP_2)
	v_mul_f64_e32 v[8:9], s[6:7], v[8:9]
	v_mul_f64_e32 v[6:7], s[6:7], v[6:7]
	s_delay_alu instid0(VALU_DEP_2) | instskip(NEXT) | instid1(VALU_DEP_2)
	v_cvt_f32_f64_e32 v8, v[8:9]
	v_cvt_f32_f64_e32 v9, v[6:7]
	global_store_b64 v[4:5], v[8:9], off
	scratch_load_b64 v[7:8], off, off offset:8 th:TH_LOAD_LU ; 8-byte Folded Reload
	v_add_co_u32 v4, vcc_lo, v4, s4
	s_wait_alu 0xfffd
	v_add_co_ci_u32_e32 v5, vcc_lo, s5, v5, vcc_lo
	s_wait_loadcnt 0x0
	v_mul_f32_e32 v6, v8, v11
	v_mov_b32_e32 v9, v8
	v_mov_b32_e32 v8, v7
	s_delay_alu instid0(VALU_DEP_3) | instskip(NEXT) | instid1(VALU_DEP_1)
	v_fmac_f32_e32 v6, v7, v10
	v_cvt_f64_f32_e32 v[6:7], v6
	s_delay_alu instid0(VALU_DEP_1) | instskip(NEXT) | instid1(VALU_DEP_1)
	v_mul_f64_e32 v[6:7], s[6:7], v[6:7]
	v_cvt_f32_f64_e32 v6, v[6:7]
	v_mul_f32_e32 v7, v9, v10
	s_delay_alu instid0(VALU_DEP_1) | instskip(NEXT) | instid1(VALU_DEP_1)
	v_fma_f32 v7, v8, v11, -v7
	v_cvt_f64_f32_e32 v[7:8], v7
	s_delay_alu instid0(VALU_DEP_1) | instskip(NEXT) | instid1(VALU_DEP_1)
	v_mul_f64_e32 v[7:8], s[6:7], v[7:8]
	v_cvt_f32_f64_e32 v7, v[7:8]
	global_store_b64 v[4:5], v[6:7], off
	scratch_load_b64 v[7:8], off, off offset:16 th:TH_LOAD_LU ; 8-byte Folded Reload
	s_wait_loadcnt 0x0
	v_mul_f32_e32 v6, v8, v1
	v_mov_b32_e32 v9, v8
	v_mov_b32_e32 v8, v7
	s_delay_alu instid0(VALU_DEP_3) | instskip(NEXT) | instid1(VALU_DEP_3)
	v_fmac_f32_e32 v6, v7, v0
	v_mul_f32_e32 v0, v9, v0
	s_delay_alu instid0(VALU_DEP_2) | instskip(NEXT) | instid1(VALU_DEP_2)
	v_cvt_f64_f32_e32 v[6:7], v6
	v_fma_f32 v0, v8, v1, -v0
	s_delay_alu instid0(VALU_DEP_1) | instskip(NEXT) | instid1(VALU_DEP_3)
	v_cvt_f64_f32_e32 v[0:1], v0
	v_mul_f64_e32 v[6:7], s[6:7], v[6:7]
	s_delay_alu instid0(VALU_DEP_2) | instskip(NEXT) | instid1(VALU_DEP_2)
	v_mul_f64_e32 v[0:1], s[6:7], v[0:1]
	v_cvt_f32_f64_e32 v6, v[6:7]
	s_delay_alu instid0(VALU_DEP_2)
	v_cvt_f32_f64_e32 v7, v[0:1]
	v_add_co_u32 v0, vcc_lo, v4, s4
	s_wait_alu 0xfffd
	v_add_co_ci_u32_e32 v1, vcc_lo, s5, v5, vcc_lo
	global_store_b64 v[0:1], v[6:7], off
	scratch_load_b64 v[6:7], off, off offset:24 th:TH_LOAD_LU ; 8-byte Folded Reload
	v_add_co_u32 v0, vcc_lo, v0, s4
	s_wait_alu 0xfffd
	v_add_co_ci_u32_e32 v1, vcc_lo, s5, v1, vcc_lo
	s_wait_loadcnt 0x0
	v_mul_f32_e32 v4, v7, v15
	s_delay_alu instid0(VALU_DEP_1) | instskip(NEXT) | instid1(VALU_DEP_1)
	v_fmac_f32_e32 v4, v6, v14
	v_cvt_f64_f32_e32 v[4:5], v4
	s_delay_alu instid0(VALU_DEP_1) | instskip(NEXT) | instid1(VALU_DEP_1)
	v_mul_f64_e32 v[4:5], s[6:7], v[4:5]
	v_cvt_f32_f64_e32 v4, v[4:5]
	v_mul_f32_e32 v5, v7, v14
	s_delay_alu instid0(VALU_DEP_1) | instskip(NEXT) | instid1(VALU_DEP_1)
	v_fma_f32 v5, v6, v15, -v5
	v_cvt_f64_f32_e32 v[5:6], v5
	s_delay_alu instid0(VALU_DEP_1) | instskip(NEXT) | instid1(VALU_DEP_1)
	v_mul_f64_e32 v[5:6], s[6:7], v[5:6]
	v_cvt_f32_f64_e32 v5, v[5:6]
	scratch_load_b64 v[6:7], off, off offset:32 th:TH_LOAD_LU ; 8-byte Folded Reload
	global_store_b64 v[0:1], v[4:5], off
	v_add_co_u32 v0, vcc_lo, v0, s4
	s_wait_alu 0xfffd
	v_add_co_ci_u32_e32 v1, vcc_lo, s5, v1, vcc_lo
	s_wait_loadcnt 0x0
	v_mul_f32_e32 v4, v7, v3
	s_delay_alu instid0(VALU_DEP_1) | instskip(SKIP_1) | instid1(VALU_DEP_2)
	v_fmac_f32_e32 v4, v6, v2
	v_mul_f32_e32 v2, v7, v2
	v_cvt_f64_f32_e32 v[4:5], v4
	s_delay_alu instid0(VALU_DEP_2) | instskip(NEXT) | instid1(VALU_DEP_1)
	v_fma_f32 v2, v6, v3, -v2
	v_cvt_f64_f32_e32 v[2:3], v2
	s_delay_alu instid0(VALU_DEP_3) | instskip(NEXT) | instid1(VALU_DEP_2)
	v_mul_f64_e32 v[4:5], s[6:7], v[4:5]
	v_mul_f64_e32 v[2:3], s[6:7], v[2:3]
	s_delay_alu instid0(VALU_DEP_2) | instskip(NEXT) | instid1(VALU_DEP_2)
	v_cvt_f32_f64_e32 v4, v[4:5]
	v_cvt_f32_f64_e32 v5, v[2:3]
	global_store_b64 v[0:1], v[4:5], off
	scratch_load_b64 v[4:5], off, off offset:48 th:TH_LOAD_LU ; 8-byte Folded Reload
	v_add_co_u32 v0, vcc_lo, v0, s4
	s_wait_alu 0xfffd
	v_add_co_ci_u32_e32 v1, vcc_lo, s5, v1, vcc_lo
	s_wait_loadcnt 0x0
	v_mul_f32_e32 v2, v5, v19
	s_delay_alu instid0(VALU_DEP_1) | instskip(NEXT) | instid1(VALU_DEP_1)
	v_fmac_f32_e32 v2, v4, v18
	v_cvt_f64_f32_e32 v[2:3], v2
	s_delay_alu instid0(VALU_DEP_1) | instskip(NEXT) | instid1(VALU_DEP_1)
	v_mul_f64_e32 v[2:3], s[6:7], v[2:3]
	v_cvt_f32_f64_e32 v2, v[2:3]
	v_mul_f32_e32 v3, v5, v18
	scratch_load_b64 v[5:6], off, off offset:40 th:TH_LOAD_LU ; 8-byte Folded Reload
	v_fma_f32 v3, v4, v19, -v3
	s_delay_alu instid0(VALU_DEP_1) | instskip(NEXT) | instid1(VALU_DEP_1)
	v_cvt_f64_f32_e32 v[3:4], v3
	v_mul_f64_e32 v[3:4], s[6:7], v[3:4]
	s_delay_alu instid0(VALU_DEP_1)
	v_cvt_f32_f64_e32 v3, v[3:4]
	global_store_b64 v[0:1], v[2:3], off
	ds_load_b64 v[2:3], v98 offset:18816
	v_add_co_u32 v0, vcc_lo, v0, s4
	s_wait_alu 0xfffd
	v_add_co_ci_u32_e32 v1, vcc_lo, s5, v1, vcc_lo
	s_wait_loadcnt_dscnt 0x0
	v_mul_f32_e32 v4, v6, v3
	v_mov_b32_e32 v7, v6
	v_mov_b32_e32 v6, v5
	s_delay_alu instid0(VALU_DEP_3) | instskip(NEXT) | instid1(VALU_DEP_3)
	v_fmac_f32_e32 v4, v5, v2
	v_mul_f32_e32 v2, v7, v2
	s_delay_alu instid0(VALU_DEP_2) | instskip(NEXT) | instid1(VALU_DEP_2)
	v_cvt_f64_f32_e32 v[4:5], v4
	v_fma_f32 v2, v6, v3, -v2
	s_delay_alu instid0(VALU_DEP_1) | instskip(NEXT) | instid1(VALU_DEP_3)
	v_cvt_f64_f32_e32 v[2:3], v2
	v_mul_f64_e32 v[4:5], s[6:7], v[4:5]
	s_delay_alu instid0(VALU_DEP_2) | instskip(NEXT) | instid1(VALU_DEP_2)
	v_mul_f64_e32 v[2:3], s[6:7], v[2:3]
	v_cvt_f32_f64_e32 v4, v[4:5]
	s_delay_alu instid0(VALU_DEP_2)
	v_cvt_f32_f64_e32 v5, v[2:3]
	global_store_b64 v[0:1], v[4:5], off
.LBB0_2:
	s_nop 0
	s_sendmsg sendmsg(MSG_DEALLOC_VGPRS)
	s_endpgm
	.section	.rodata,"a",@progbits
	.p2align	6, 0x0
	.amdhsa_kernel bluestein_single_fwd_len2401_dim1_sp_op_CI_CI
		.amdhsa_group_segment_fixed_size 19208
		.amdhsa_private_segment_fixed_size 980
		.amdhsa_kernarg_size 104
		.amdhsa_user_sgpr_count 2
		.amdhsa_user_sgpr_dispatch_ptr 0
		.amdhsa_user_sgpr_queue_ptr 0
		.amdhsa_user_sgpr_kernarg_segment_ptr 1
		.amdhsa_user_sgpr_dispatch_id 0
		.amdhsa_user_sgpr_private_segment_size 0
		.amdhsa_wavefront_size32 1
		.amdhsa_uses_dynamic_stack 0
		.amdhsa_enable_private_segment 1
		.amdhsa_system_sgpr_workgroup_id_x 1
		.amdhsa_system_sgpr_workgroup_id_y 0
		.amdhsa_system_sgpr_workgroup_id_z 0
		.amdhsa_system_sgpr_workgroup_info 0
		.amdhsa_system_vgpr_workitem_id 0
		.amdhsa_next_free_vgpr 256
		.amdhsa_next_free_sgpr 24
		.amdhsa_reserve_vcc 1
		.amdhsa_float_round_mode_32 0
		.amdhsa_float_round_mode_16_64 0
		.amdhsa_float_denorm_mode_32 3
		.amdhsa_float_denorm_mode_16_64 3
		.amdhsa_fp16_overflow 0
		.amdhsa_workgroup_processor_mode 1
		.amdhsa_memory_ordered 1
		.amdhsa_forward_progress 0
		.amdhsa_round_robin_scheduling 0
		.amdhsa_exception_fp_ieee_invalid_op 0
		.amdhsa_exception_fp_denorm_src 0
		.amdhsa_exception_fp_ieee_div_zero 0
		.amdhsa_exception_fp_ieee_overflow 0
		.amdhsa_exception_fp_ieee_underflow 0
		.amdhsa_exception_fp_ieee_inexact 0
		.amdhsa_exception_int_div_zero 0
	.end_amdhsa_kernel
	.text
.Lfunc_end0:
	.size	bluestein_single_fwd_len2401_dim1_sp_op_CI_CI, .Lfunc_end0-bluestein_single_fwd_len2401_dim1_sp_op_CI_CI
                                        ; -- End function
	.section	.AMDGPU.csdata,"",@progbits
; Kernel info:
; codeLenInByte = 53236
; NumSgprs: 26
; NumVgprs: 256
; ScratchSize: 980
; MemoryBound: 0
; FloatMode: 240
; IeeeMode: 1
; LDSByteSize: 19208 bytes/workgroup (compile time only)
; SGPRBlocks: 3
; VGPRBlocks: 31
; NumSGPRsForWavesPerEU: 26
; NumVGPRsForWavesPerEU: 256
; Occupancy: 3
; WaveLimiterHint : 1
; COMPUTE_PGM_RSRC2:SCRATCH_EN: 1
; COMPUTE_PGM_RSRC2:USER_SGPR: 2
; COMPUTE_PGM_RSRC2:TRAP_HANDLER: 0
; COMPUTE_PGM_RSRC2:TGID_X_EN: 1
; COMPUTE_PGM_RSRC2:TGID_Y_EN: 0
; COMPUTE_PGM_RSRC2:TGID_Z_EN: 0
; COMPUTE_PGM_RSRC2:TIDIG_COMP_CNT: 0
	.text
	.p2alignl 7, 3214868480
	.fill 96, 4, 3214868480
	.type	__hip_cuid_131831187102456d,@object ; @__hip_cuid_131831187102456d
	.section	.bss,"aw",@nobits
	.globl	__hip_cuid_131831187102456d
__hip_cuid_131831187102456d:
	.byte	0                               ; 0x0
	.size	__hip_cuid_131831187102456d, 1

	.ident	"AMD clang version 19.0.0git (https://github.com/RadeonOpenCompute/llvm-project roc-6.4.0 25133 c7fe45cf4b819c5991fe208aaa96edf142730f1d)"
	.section	".note.GNU-stack","",@progbits
	.addrsig
	.addrsig_sym __hip_cuid_131831187102456d
	.amdgpu_metadata
---
amdhsa.kernels:
  - .args:
      - .actual_access:  read_only
        .address_space:  global
        .offset:         0
        .size:           8
        .value_kind:     global_buffer
      - .actual_access:  read_only
        .address_space:  global
        .offset:         8
        .size:           8
        .value_kind:     global_buffer
      - .actual_access:  read_only
        .address_space:  global
        .offset:         16
        .size:           8
        .value_kind:     global_buffer
      - .actual_access:  read_only
        .address_space:  global
        .offset:         24
        .size:           8
        .value_kind:     global_buffer
      - .actual_access:  read_only
        .address_space:  global
        .offset:         32
        .size:           8
        .value_kind:     global_buffer
      - .offset:         40
        .size:           8
        .value_kind:     by_value
      - .address_space:  global
        .offset:         48
        .size:           8
        .value_kind:     global_buffer
      - .address_space:  global
        .offset:         56
        .size:           8
        .value_kind:     global_buffer
      - .address_space:  global
        .offset:         64
        .size:           8
        .value_kind:     global_buffer
      - .address_space:  global
        .offset:         72
        .size:           8
        .value_kind:     global_buffer
      - .offset:         80
        .size:           4
        .value_kind:     by_value
      - .address_space:  global
        .offset:         88
        .size:           8
        .value_kind:     global_buffer
      - .address_space:  global
        .offset:         96
        .size:           8
        .value_kind:     global_buffer
    .group_segment_fixed_size: 19208
    .kernarg_segment_align: 8
    .kernarg_segment_size: 104
    .language:       OpenCL C
    .language_version:
      - 2
      - 0
    .max_flat_workgroup_size: 49
    .name:           bluestein_single_fwd_len2401_dim1_sp_op_CI_CI
    .private_segment_fixed_size: 980
    .sgpr_count:     26
    .sgpr_spill_count: 0
    .symbol:         bluestein_single_fwd_len2401_dim1_sp_op_CI_CI.kd
    .uniform_work_group_size: 1
    .uses_dynamic_stack: false
    .vgpr_count:     256
    .vgpr_spill_count: 251
    .wavefront_size: 32
    .workgroup_processor_mode: 1
amdhsa.target:   amdgcn-amd-amdhsa--gfx1201
amdhsa.version:
  - 1
  - 2
...

	.end_amdgpu_metadata
